;; amdgpu-corpus repo=ROCm/rocFFT kind=compiled arch=gfx906 opt=O3
	.text
	.amdgcn_target "amdgcn-amd-amdhsa--gfx906"
	.amdhsa_code_object_version 6
	.protected	fft_rtc_back_len816_factors_17_2_3_2_2_2_wgs_51_tpt_51_halfLds_sp_ip_CI_unitstride_sbrr_dirReg ; -- Begin function fft_rtc_back_len816_factors_17_2_3_2_2_2_wgs_51_tpt_51_halfLds_sp_ip_CI_unitstride_sbrr_dirReg
	.globl	fft_rtc_back_len816_factors_17_2_3_2_2_2_wgs_51_tpt_51_halfLds_sp_ip_CI_unitstride_sbrr_dirReg
	.p2align	8
	.type	fft_rtc_back_len816_factors_17_2_3_2_2_2_wgs_51_tpt_51_halfLds_sp_ip_CI_unitstride_sbrr_dirReg,@function
fft_rtc_back_len816_factors_17_2_3_2_2_2_wgs_51_tpt_51_halfLds_sp_ip_CI_unitstride_sbrr_dirReg: ; @fft_rtc_back_len816_factors_17_2_3_2_2_2_wgs_51_tpt_51_halfLds_sp_ip_CI_unitstride_sbrr_dirReg
; %bb.0:
	s_load_dwordx2 s[12:13], s[4:5], 0x50
	s_load_dwordx4 s[8:11], s[4:5], 0x0
	s_load_dwordx2 s[2:3], s[4:5], 0x18
	v_mul_u32_u24_e32 v1, 0x506, v0
	v_add_u32_sdwa v5, s6, v1 dst_sel:DWORD dst_unused:UNUSED_PAD src0_sel:DWORD src1_sel:WORD_1
	v_mov_b32_e32 v3, 0
	s_waitcnt lgkmcnt(0)
	v_cmp_lt_u64_e64 s[0:1], s[10:11], 2
	v_mov_b32_e32 v1, 0
	v_mov_b32_e32 v6, v3
	s_and_b64 vcc, exec, s[0:1]
	v_mov_b32_e32 v2, 0
	s_cbranch_vccnz .LBB0_8
; %bb.1:
	s_load_dwordx2 s[0:1], s[4:5], 0x10
	s_add_u32 s6, s2, 8
	s_addc_u32 s7, s3, 0
	v_mov_b32_e32 v1, 0
	v_mov_b32_e32 v2, 0
	s_waitcnt lgkmcnt(0)
	s_add_u32 s14, s0, 8
	s_addc_u32 s15, s1, 0
	s_mov_b64 s[16:17], 1
.LBB0_2:                                ; =>This Inner Loop Header: Depth=1
	s_load_dwordx2 s[18:19], s[14:15], 0x0
                                        ; implicit-def: $vgpr7_vgpr8
	s_waitcnt lgkmcnt(0)
	v_or_b32_e32 v4, s19, v6
	v_cmp_ne_u64_e32 vcc, 0, v[3:4]
	s_and_saveexec_b64 s[0:1], vcc
	s_xor_b64 s[20:21], exec, s[0:1]
	s_cbranch_execz .LBB0_4
; %bb.3:                                ;   in Loop: Header=BB0_2 Depth=1
	v_cvt_f32_u32_e32 v4, s18
	v_cvt_f32_u32_e32 v7, s19
	s_sub_u32 s0, 0, s18
	s_subb_u32 s1, 0, s19
	v_mac_f32_e32 v4, 0x4f800000, v7
	v_rcp_f32_e32 v4, v4
	v_mul_f32_e32 v4, 0x5f7ffffc, v4
	v_mul_f32_e32 v7, 0x2f800000, v4
	v_trunc_f32_e32 v7, v7
	v_mac_f32_e32 v4, 0xcf800000, v7
	v_cvt_u32_f32_e32 v7, v7
	v_cvt_u32_f32_e32 v4, v4
	v_mul_lo_u32 v8, s0, v7
	v_mul_hi_u32 v9, s0, v4
	v_mul_lo_u32 v11, s1, v4
	v_mul_lo_u32 v10, s0, v4
	v_add_u32_e32 v8, v9, v8
	v_add_u32_e32 v8, v8, v11
	v_mul_hi_u32 v9, v4, v10
	v_mul_lo_u32 v11, v4, v8
	v_mul_hi_u32 v13, v4, v8
	v_mul_hi_u32 v12, v7, v10
	v_mul_lo_u32 v10, v7, v10
	v_mul_hi_u32 v14, v7, v8
	v_add_co_u32_e32 v9, vcc, v9, v11
	v_addc_co_u32_e32 v11, vcc, 0, v13, vcc
	v_mul_lo_u32 v8, v7, v8
	v_add_co_u32_e32 v9, vcc, v9, v10
	v_addc_co_u32_e32 v9, vcc, v11, v12, vcc
	v_addc_co_u32_e32 v10, vcc, 0, v14, vcc
	v_add_co_u32_e32 v8, vcc, v9, v8
	v_addc_co_u32_e32 v9, vcc, 0, v10, vcc
	v_add_co_u32_e32 v4, vcc, v4, v8
	v_addc_co_u32_e32 v7, vcc, v7, v9, vcc
	v_mul_lo_u32 v8, s0, v7
	v_mul_hi_u32 v9, s0, v4
	v_mul_lo_u32 v10, s1, v4
	v_mul_lo_u32 v11, s0, v4
	v_add_u32_e32 v8, v9, v8
	v_add_u32_e32 v8, v8, v10
	v_mul_lo_u32 v12, v4, v8
	v_mul_hi_u32 v13, v4, v11
	v_mul_hi_u32 v14, v4, v8
	;; [unrolled: 1-line block ×3, first 2 shown]
	v_mul_lo_u32 v11, v7, v11
	v_mul_hi_u32 v9, v7, v8
	v_add_co_u32_e32 v12, vcc, v13, v12
	v_addc_co_u32_e32 v13, vcc, 0, v14, vcc
	v_mul_lo_u32 v8, v7, v8
	v_add_co_u32_e32 v11, vcc, v12, v11
	v_addc_co_u32_e32 v10, vcc, v13, v10, vcc
	v_addc_co_u32_e32 v9, vcc, 0, v9, vcc
	v_add_co_u32_e32 v8, vcc, v10, v8
	v_addc_co_u32_e32 v9, vcc, 0, v9, vcc
	v_add_co_u32_e32 v4, vcc, v4, v8
	v_addc_co_u32_e32 v9, vcc, v7, v9, vcc
	v_mad_u64_u32 v[7:8], s[0:1], v5, v9, 0
	v_mul_hi_u32 v10, v5, v4
	v_add_co_u32_e32 v11, vcc, v10, v7
	v_addc_co_u32_e32 v12, vcc, 0, v8, vcc
	v_mad_u64_u32 v[7:8], s[0:1], v6, v4, 0
	v_mad_u64_u32 v[9:10], s[0:1], v6, v9, 0
	v_add_co_u32_e32 v4, vcc, v11, v7
	v_addc_co_u32_e32 v4, vcc, v12, v8, vcc
	v_addc_co_u32_e32 v7, vcc, 0, v10, vcc
	v_add_co_u32_e32 v4, vcc, v4, v9
	v_addc_co_u32_e32 v9, vcc, 0, v7, vcc
	v_mul_lo_u32 v10, s19, v4
	v_mul_lo_u32 v11, s18, v9
	v_mad_u64_u32 v[7:8], s[0:1], s18, v4, 0
	v_add3_u32 v8, v8, v11, v10
	v_sub_u32_e32 v10, v6, v8
	v_mov_b32_e32 v11, s19
	v_sub_co_u32_e32 v7, vcc, v5, v7
	v_subb_co_u32_e64 v10, s[0:1], v10, v11, vcc
	v_subrev_co_u32_e64 v11, s[0:1], s18, v7
	v_subbrev_co_u32_e64 v10, s[0:1], 0, v10, s[0:1]
	v_cmp_le_u32_e64 s[0:1], s19, v10
	v_cndmask_b32_e64 v12, 0, -1, s[0:1]
	v_cmp_le_u32_e64 s[0:1], s18, v11
	v_cndmask_b32_e64 v11, 0, -1, s[0:1]
	v_cmp_eq_u32_e64 s[0:1], s19, v10
	v_cndmask_b32_e64 v10, v12, v11, s[0:1]
	v_add_co_u32_e64 v11, s[0:1], 2, v4
	v_addc_co_u32_e64 v12, s[0:1], 0, v9, s[0:1]
	v_add_co_u32_e64 v13, s[0:1], 1, v4
	v_addc_co_u32_e64 v14, s[0:1], 0, v9, s[0:1]
	v_subb_co_u32_e32 v8, vcc, v6, v8, vcc
	v_cmp_ne_u32_e64 s[0:1], 0, v10
	v_cmp_le_u32_e32 vcc, s19, v8
	v_cndmask_b32_e64 v10, v14, v12, s[0:1]
	v_cndmask_b32_e64 v12, 0, -1, vcc
	v_cmp_le_u32_e32 vcc, s18, v7
	v_cndmask_b32_e64 v7, 0, -1, vcc
	v_cmp_eq_u32_e32 vcc, s19, v8
	v_cndmask_b32_e32 v7, v12, v7, vcc
	v_cmp_ne_u32_e32 vcc, 0, v7
	v_cndmask_b32_e64 v7, v13, v11, s[0:1]
	v_cndmask_b32_e32 v8, v9, v10, vcc
	v_cndmask_b32_e32 v7, v4, v7, vcc
.LBB0_4:                                ;   in Loop: Header=BB0_2 Depth=1
	s_andn2_saveexec_b64 s[0:1], s[20:21]
	s_cbranch_execz .LBB0_6
; %bb.5:                                ;   in Loop: Header=BB0_2 Depth=1
	v_cvt_f32_u32_e32 v4, s18
	s_sub_i32 s20, 0, s18
	v_rcp_iflag_f32_e32 v4, v4
	v_mul_f32_e32 v4, 0x4f7ffffe, v4
	v_cvt_u32_f32_e32 v4, v4
	v_mul_lo_u32 v7, s20, v4
	v_mul_hi_u32 v7, v4, v7
	v_add_u32_e32 v4, v4, v7
	v_mul_hi_u32 v4, v5, v4
	v_mul_lo_u32 v7, v4, s18
	v_add_u32_e32 v8, 1, v4
	v_sub_u32_e32 v7, v5, v7
	v_subrev_u32_e32 v9, s18, v7
	v_cmp_le_u32_e32 vcc, s18, v7
	v_cndmask_b32_e32 v7, v7, v9, vcc
	v_cndmask_b32_e32 v4, v4, v8, vcc
	v_add_u32_e32 v8, 1, v4
	v_cmp_le_u32_e32 vcc, s18, v7
	v_cndmask_b32_e32 v7, v4, v8, vcc
	v_mov_b32_e32 v8, v3
.LBB0_6:                                ;   in Loop: Header=BB0_2 Depth=1
	s_or_b64 exec, exec, s[0:1]
	v_mul_lo_u32 v4, v8, s18
	v_mul_lo_u32 v11, v7, s19
	v_mad_u64_u32 v[9:10], s[0:1], v7, s18, 0
	s_load_dwordx2 s[0:1], s[6:7], 0x0
	s_add_u32 s16, s16, 1
	v_add3_u32 v4, v10, v11, v4
	v_sub_co_u32_e32 v5, vcc, v5, v9
	v_subb_co_u32_e32 v4, vcc, v6, v4, vcc
	s_waitcnt lgkmcnt(0)
	v_mul_lo_u32 v4, s0, v4
	v_mul_lo_u32 v6, s1, v5
	v_mad_u64_u32 v[1:2], s[0:1], s0, v5, v[1:2]
	s_addc_u32 s17, s17, 0
	s_add_u32 s6, s6, 8
	v_add3_u32 v2, v6, v2, v4
	v_mov_b32_e32 v4, s10
	v_mov_b32_e32 v5, s11
	s_addc_u32 s7, s7, 0
	v_cmp_ge_u64_e32 vcc, s[16:17], v[4:5]
	s_add_u32 s14, s14, 8
	s_addc_u32 s15, s15, 0
	s_cbranch_vccnz .LBB0_9
; %bb.7:                                ;   in Loop: Header=BB0_2 Depth=1
	v_mov_b32_e32 v5, v7
	v_mov_b32_e32 v6, v8
	s_branch .LBB0_2
.LBB0_8:
	v_mov_b32_e32 v8, v6
	v_mov_b32_e32 v7, v5
.LBB0_9:
	s_lshl_b64 s[0:1], s[10:11], 3
	s_add_u32 s0, s2, s0
	s_addc_u32 s1, s3, s1
	s_load_dwordx2 s[2:3], s[0:1], 0x0
	s_load_dwordx2 s[6:7], s[4:5], 0x20
                                        ; implicit-def: $vgpr9
                                        ; implicit-def: $vgpr11
                                        ; implicit-def: $vgpr13
                                        ; implicit-def: $vgpr15
                                        ; implicit-def: $vgpr17
                                        ; implicit-def: $vgpr19
                                        ; implicit-def: $vgpr21
                                        ; implicit-def: $vgpr23
                                        ; implicit-def: $vgpr27
                                        ; implicit-def: $vgpr25
                                        ; implicit-def: $vgpr31
                                        ; implicit-def: $vgpr29
                                        ; implicit-def: $vgpr33
                                        ; implicit-def: $vgpr35
                                        ; implicit-def: $vgpr37
	s_waitcnt lgkmcnt(0)
	v_mad_u64_u32 v[1:2], s[0:1], s2, v7, v[1:2]
	s_mov_b32 s0, 0x5050506
	v_mul_lo_u32 v3, s2, v8
	v_mul_lo_u32 v4, s3, v7
	v_mul_hi_u32 v5, v0, s0
	v_cmp_gt_u64_e32 vcc, s[6:7], v[7:8]
                                        ; implicit-def: $vgpr7
	v_add3_u32 v2, v4, v2, v3
	v_mul_u32_u24_e32 v3, 51, v5
	v_sub_u32_e32 v0, v0, v3
	v_cmp_gt_u32_e64 s[0:1], 48, v0
	v_lshlrev_b64 v[2:3], 3, v[1:2]
	s_and_b64 s[2:3], vcc, s[0:1]
	v_mov_b32_e32 v5, 0
	v_mov_b32_e32 v4, 0
	s_and_saveexec_b64 s[4:5], s[2:3]
	s_cbranch_execz .LBB0_11
; %bb.10:
	v_mov_b32_e32 v1, 0
	v_mov_b32_e32 v4, s13
	v_add_co_u32_e64 v6, s[2:3], s12, v2
	v_addc_co_u32_e64 v7, s[2:3], v4, v3, s[2:3]
	v_lshlrev_b64 v[4:5], 3, v[0:1]
	v_add_co_u32_e64 v38, s[2:3], v6, v4
	v_addc_co_u32_e64 v39, s[2:3], v7, v5, s[2:3]
	v_or_b32_e32 v4, 0x240, v0
	v_mov_b32_e32 v5, v1
	v_lshlrev_b64 v[4:5], 3, v[4:5]
	v_add_co_u32_e64 v40, s[2:3], v6, v4
	v_addc_co_u32_e64 v41, s[2:3], v7, v5, s[2:3]
	v_or_b32_e32 v4, 0x300, v0
	v_mov_b32_e32 v5, v1
	v_lshlrev_b64 v[4:5], 3, v[4:5]
	v_add_co_u32_e64 v42, s[2:3], v6, v4
	v_addc_co_u32_e64 v43, s[2:3], v7, v5, s[2:3]
	s_movk_i32 s2, 0x1000
	v_add_co_u32_e64 v44, s[2:3], s2, v38
	global_load_dwordx2 v[4:5], v[38:39], off
	global_load_dwordx2 v[6:7], v[38:39], off offset:384
	global_load_dwordx2 v[8:9], v[38:39], off offset:768
	;; [unrolled: 1-line block ×3, first 2 shown]
	v_addc_co_u32_e64 v45, s[2:3], 0, v39, s[2:3]
	global_load_dwordx2 v[12:13], v[38:39], off offset:1536
	global_load_dwordx2 v[14:15], v[38:39], off offset:1920
	;; [unrolled: 1-line block ×10, first 2 shown]
	global_load_dwordx2 v[26:27], v[40:41], off
	global_load_dwordx2 v[28:29], v[44:45], off offset:1664
	global_load_dwordx2 v[30:31], v[42:43], off
.LBB0_11:
	s_or_b64 exec, exec, s[4:5]
	s_waitcnt vmcnt(0)
	v_sub_f32_e32 v49, v7, v31
	v_add_f32_e32 v38, v6, v30
	s_mov_b32 s2, 0x3f6eb680
	v_mul_f32_e32 v39, 0xbeb8f4ab, v49
	v_sub_f32_e32 v52, v9, v29
	v_fma_f32 v1, v38, s2, -v39
	s_mov_b32 s2, 0x3f3d2fb0
	v_add_f32_e32 v40, v8, v28
	v_mul_f32_e32 v41, 0xbf2c7751, v52
	v_add_f32_e32 v1, v4, v1
	v_fma_f32 v42, v40, s2, -v41
	v_sub_f32_e32 v54, v11, v25
	v_add_f32_e32 v1, v1, v42
	s_mov_b32 s2, 0x3ee437d1
	v_add_f32_e32 v42, v10, v24
	v_mul_f32_e32 v43, 0xbf65296c, v54
	v_fma_f32 v44, v42, s2, -v43
	v_sub_f32_e32 v56, v13, v33
	v_add_f32_e32 v1, v44, v1
	s_mov_b32 s2, 0x3dbcf732
	v_add_f32_e32 v44, v12, v32
	v_mul_f32_e32 v45, 0xbf7ee86f, v56
	;; [unrolled: 6-line block ×6, first 2 shown]
	v_fma_f32 v62, v57, s2, -v55
	v_add_f32_e32 v1, v1, v62
	s_and_saveexec_b64 s[2:3], s[0:1]
	s_cbranch_execz .LBB0_13
; %bb.12:
	v_mul_f32_e32 v62, 0xbf7ba420, v38
	v_mov_b32_e32 v63, v62
	v_mul_f32_e32 v64, 0x3f6eb680, v40
	v_fmac_f32_e32 v63, 0x3e3c28d5, v49
	v_mov_b32_e32 v65, v64
	v_add_f32_e32 v63, v4, v63
	v_fmac_f32_e32 v65, 0xbeb8f4ab, v52
	v_add_f32_e32 v63, v63, v65
	v_mul_f32_e32 v65, 0xbf59a7d5, v42
	v_mov_b32_e32 v66, v65
	v_fmac_f32_e32 v66, 0x3f06c442, v54
	v_add_f32_e32 v63, v66, v63
	v_mul_f32_e32 v66, 0x3f3d2fb0, v44
	v_fmac_f32_e32 v62, 0xbe3c28d5, v49
	v_mov_b32_e32 v67, v66
	v_add_f32_e32 v62, v4, v62
	v_fmac_f32_e32 v64, 0x3eb8f4ab, v52
	v_fmac_f32_e32 v67, 0xbf2c7751, v56
	v_add_f32_e32 v62, v62, v64
	v_fmac_f32_e32 v65, 0xbf06c442, v54
	v_add_f32_e32 v63, v63, v67
	v_mul_f32_e32 v67, 0xbf1a4643, v47
	v_add_f32_e32 v62, v65, v62
	v_fmac_f32_e32 v66, 0x3f2c7751, v56
	v_mul_f32_e32 v64, 0xbf59a7d5, v38
	v_mov_b32_e32 v68, v67
	v_add_f32_e32 v62, v62, v66
	v_fmac_f32_e32 v67, 0xbf4c4adb, v58
	v_mov_b32_e32 v65, v64
	v_mul_f32_e32 v66, 0x3ee437d1, v40
	v_fmac_f32_e32 v68, 0x3f4c4adb, v58
	v_add_f32_e32 v62, v67, v62
	v_fmac_f32_e32 v65, 0x3f06c442, v49
	v_mov_b32_e32 v67, v66
	v_add_f32_e32 v63, v68, v63
	v_mul_f32_e32 v68, 0x3ee437d1, v50
	v_add_f32_e32 v65, v4, v65
	v_fmac_f32_e32 v67, 0xbf65296c, v52
	v_mov_b32_e32 v69, v68
	v_fmac_f32_e32 v68, 0x3f65296c, v59
	v_add_f32_e32 v65, v65, v67
	v_mul_f32_e32 v67, 0x3dbcf732, v42
	v_fmac_f32_e32 v69, 0xbf65296c, v59
	v_add_f32_e32 v62, v62, v68
	v_mov_b32_e32 v68, v67
	v_add_f32_e32 v63, v63, v69
	v_mul_f32_e32 v69, 0xbe8c1d8e, v53
	v_fmac_f32_e32 v68, 0x3f7ee86f, v54
	v_mov_b32_e32 v70, v69
	v_fmac_f32_e32 v69, 0xbf763a35, v60
	v_add_f32_e32 v65, v68, v65
	v_mul_f32_e32 v68, 0xbf1a4643, v44
	v_fmac_f32_e32 v64, 0xbf06c442, v49
	v_fmac_f32_e32 v70, 0x3f763a35, v60
	v_add_f32_e32 v62, v69, v62
	v_mov_b32_e32 v69, v68
	v_add_f32_e32 v64, v4, v64
	v_fmac_f32_e32 v66, 0x3f65296c, v52
	v_add_f32_e32 v63, v70, v63
	v_mul_f32_e32 v70, 0x3dbcf732, v57
	v_fmac_f32_e32 v69, 0xbf4c4adb, v56
	v_add_f32_e32 v64, v64, v66
	v_fmac_f32_e32 v67, 0xbf7ee86f, v54
	v_mov_b32_e32 v71, v70
	v_fmac_f32_e32 v70, 0x3f7ee86f, v61
	v_add_f32_e32 v65, v65, v69
	v_mul_f32_e32 v69, 0x3f6eb680, v47
	v_add_f32_e32 v64, v67, v64
	v_fmac_f32_e32 v68, 0x3f4c4adb, v56
	v_mul_f32_e32 v66, 0xbf1a4643, v38
	v_add_f32_e32 v62, v62, v70
	v_mov_b32_e32 v70, v69
	v_add_f32_e32 v64, v64, v68
	v_fmac_f32_e32 v69, 0xbeb8f4ab, v58
	v_mov_b32_e32 v67, v66
	v_mul_f32_e32 v68, 0xbe8c1d8e, v40
	v_fmac_f32_e32 v70, 0x3eb8f4ab, v58
	v_add_f32_e32 v64, v69, v64
	v_fmac_f32_e32 v67, 0x3f4c4adb, v49
	v_mov_b32_e32 v69, v68
	v_fmac_f32_e32 v71, 0xbf7ee86f, v61
	v_add_f32_e32 v65, v70, v65
	v_mul_f32_e32 v70, 0xbf7ba420, v50
	v_add_f32_e32 v67, v4, v67
	v_fmac_f32_e32 v69, 0xbf763a35, v52
	v_add_f32_e32 v63, v63, v71
	v_mov_b32_e32 v71, v70
	v_fmac_f32_e32 v70, 0xbe3c28d5, v59
	v_add_f32_e32 v67, v67, v69
	v_mul_f32_e32 v69, 0x3f6eb680, v42
	v_fmac_f32_e32 v71, 0x3e3c28d5, v59
	v_add_f32_e32 v64, v64, v70
	v_mov_b32_e32 v70, v69
	v_add_f32_e32 v65, v65, v71
	v_mul_f32_e32 v71, 0x3f3d2fb0, v53
	v_fmac_f32_e32 v70, 0x3eb8f4ab, v54
	v_mov_b32_e32 v72, v71
	v_fmac_f32_e32 v71, 0x3f2c7751, v60
	v_add_f32_e32 v67, v70, v67
	v_mul_f32_e32 v70, 0xbf59a7d5, v44
	v_fmac_f32_e32 v66, 0xbf4c4adb, v49
	v_fmac_f32_e32 v72, 0xbf2c7751, v60
	v_add_f32_e32 v64, v71, v64
	v_mov_b32_e32 v71, v70
	v_add_f32_e32 v66, v4, v66
	v_fmac_f32_e32 v68, 0x3f763a35, v52
	v_add_f32_e32 v65, v72, v65
	v_mul_f32_e32 v72, 0xbe8c1d8e, v57
	v_fmac_f32_e32 v71, 0x3f06c442, v56
	v_add_f32_e32 v66, v66, v68
	v_fmac_f32_e32 v69, 0xbeb8f4ab, v54
	v_mov_b32_e32 v73, v72
	v_fmac_f32_e32 v72, 0xbf763a35, v61
	v_add_f32_e32 v67, v67, v71
	v_mul_f32_e32 v71, 0x3dbcf732, v47
	v_add_f32_e32 v66, v69, v66
	v_fmac_f32_e32 v70, 0xbf06c442, v56
	v_mul_f32_e32 v68, 0xbe8c1d8e, v38
	v_add_f32_e32 v64, v64, v72
	v_mov_b32_e32 v72, v71
	v_add_f32_e32 v66, v66, v70
	v_fmac_f32_e32 v71, 0x3f7ee86f, v58
	v_mov_b32_e32 v69, v68
	v_mul_f32_e32 v70, 0xbf59a7d5, v40
	v_fmac_f32_e32 v72, 0xbf7ee86f, v58
	v_add_f32_e32 v66, v71, v66
	v_fmac_f32_e32 v69, 0x3f763a35, v49
	v_mov_b32_e32 v71, v70
	v_fmac_f32_e32 v73, 0x3f763a35, v61
	v_add_f32_e32 v67, v72, v67
	v_mul_f32_e32 v72, 0x3f3d2fb0, v50
	v_add_f32_e32 v69, v4, v69
	v_fmac_f32_e32 v71, 0xbf06c442, v52
	v_add_f32_e32 v65, v65, v73
	;; [unrolled: 48-line block ×5, first 2 shown]
	v_mov_b32_e32 v79, v78
	v_fmac_f32_e32 v78, 0xbeb8f4ab, v59
	v_add_f32_e32 v75, v75, v77
	v_mul_f32_e32 v77, 0xbf1a4643, v42
	v_mul_f32_e32 v38, 0x3f6eb680, v38
	v_fmac_f32_e32 v79, 0x3eb8f4ab, v59
	v_add_f32_e32 v72, v72, v78
	v_mov_b32_e32 v78, v77
	v_fmac_f32_e32 v74, 0xbf2c7751, v49
	v_add_f32_e32 v38, v39, v38
	v_add_f32_e32 v73, v73, v79
	v_mul_f32_e32 v79, 0x3dbcf732, v53
	v_fmac_f32_e32 v78, 0x3f4c4adb, v54
	v_add_f32_e32 v49, v4, v74
	v_add_f32_e32 v38, v4, v38
	v_add_f32_e32 v4, v4, v6
	v_mov_b32_e32 v80, v79
	v_fmac_f32_e32 v79, 0xbf7ee86f, v60
	v_add_f32_e32 v75, v78, v75
	v_mul_f32_e32 v78, 0xbf7ba420, v44
	v_add_f32_e32 v4, v4, v8
	v_fmac_f32_e32 v80, 0x3f7ee86f, v60
	v_add_f32_e32 v72, v79, v72
	v_mov_b32_e32 v79, v78
	v_add_f32_e32 v4, v4, v10
	v_add_f32_e32 v73, v80, v73
	v_mul_f32_e32 v80, 0xbf59a7d5, v57
	v_fmac_f32_e32 v79, 0x3e3c28d5, v56
	v_add_f32_e32 v4, v4, v12
	v_mov_b32_e32 v81, v80
	v_fmac_f32_e32 v80, 0xbf06c442, v61
	v_add_f32_e32 v75, v75, v79
	v_mul_f32_e32 v79, 0xbf59a7d5, v47
	v_mul_f32_e32 v39, 0x3f3d2fb0, v40
	v_add_f32_e32 v4, v4, v14
	v_add_f32_e32 v72, v72, v80
	v_mov_b32_e32 v80, v79
	v_add_f32_e32 v39, v41, v39
	v_add_f32_e32 v4, v4, v16
	v_fmac_f32_e32 v80, 0xbf06c442, v58
	v_add_f32_e32 v38, v38, v39
	v_mul_f32_e32 v39, 0x3ee437d1, v42
	v_add_f32_e32 v4, v4, v18
	v_fmac_f32_e32 v81, 0x3f06c442, v61
	v_add_f32_e32 v75, v80, v75
	v_mul_f32_e32 v80, 0xbe8c1d8e, v50
	v_add_f32_e32 v39, v43, v39
	v_add_f32_e32 v4, v4, v20
	;; [unrolled: 1-line block ×3, first 2 shown]
	v_mov_b32_e32 v81, v80
	v_add_f32_e32 v38, v39, v38
	v_mul_f32_e32 v39, 0x3dbcf732, v44
	v_add_f32_e32 v4, v4, v36
	v_fmac_f32_e32 v81, 0xbf763a35, v59
	v_fmac_f32_e32 v76, 0xbf7ee86f, v52
	v_add_f32_e32 v39, v45, v39
	v_add_f32_e32 v4, v22, v4
	;; [unrolled: 1-line block ×3, first 2 shown]
	v_mul_f32_e32 v81, 0x3ee437d1, v53
	v_add_f32_e32 v49, v49, v76
	v_fmac_f32_e32 v77, 0xbf4c4adb, v54
	v_add_f32_e32 v38, v38, v39
	v_mul_f32_e32 v39, 0xbe8c1d8e, v47
	v_add_f32_e32 v4, v34, v4
	v_mov_b32_e32 v82, v81
	v_add_f32_e32 v49, v77, v49
	v_fmac_f32_e32 v78, 0xbe3c28d5, v56
	v_mul_f32_e32 v40, 0xbf1a4643, v50
	v_add_f32_e32 v39, v46, v39
	v_add_f32_e32 v4, v26, v4
	v_fmac_f32_e32 v82, 0xbf65296c, v60
	v_add_f32_e32 v49, v49, v78
	v_fmac_f32_e32 v79, 0x3f06c442, v58
	v_mul_f32_e32 v41, 0xbf59a7d5, v53
	v_add_f32_e32 v38, v39, v38
	v_add_f32_e32 v39, v48, v40
	;; [unrolled: 1-line block ×4, first 2 shown]
	v_mul_f32_e32 v82, 0x3f6eb680, v57
	v_add_f32_e32 v49, v79, v49
	v_fmac_f32_e32 v80, 0x3f763a35, v59
	v_mul_f32_e32 v42, 0xbf7ba420, v57
	v_add_f32_e32 v38, v38, v39
	v_add_f32_e32 v39, v51, v41
	;; [unrolled: 1-line block ×3, first 2 shown]
	v_mov_b32_e32 v83, v82
	v_add_f32_e32 v49, v49, v80
	v_fmac_f32_e32 v81, 0x3f65296c, v60
	v_add_f32_e32 v38, v39, v38
	v_add_f32_e32 v39, v55, v42
	;; [unrolled: 1-line block ×3, first 2 shown]
	s_movk_i32 s4, 0x44
	v_fmac_f32_e32 v83, 0xbeb8f4ab, v61
	v_add_f32_e32 v49, v81, v49
	v_fmac_f32_e32 v82, 0x3eb8f4ab, v61
	v_add_f32_e32 v38, v38, v39
	v_add_f32_e32 v4, v30, v4
	v_mad_u32_u24 v39, v0, s4, 0
	v_add_f32_e32 v75, v75, v83
	v_add_f32_e32 v49, v49, v82
	ds_write2_b32 v39, v4, v38 offset1:1
	ds_write2_b32 v39, v49, v72 offset0:2 offset1:3
	ds_write2_b32 v39, v70, v68 offset0:4 offset1:5
	;; [unrolled: 1-line block ×7, first 2 shown]
	ds_write_b32 v39, v1 offset:64
.LBB0_13:
	s_or_b64 exec, exec, s[2:3]
	v_sub_f32_e32 v64, v6, v30
	v_mul_f32_e32 v67, 0xbeb8f4ab, v64
	v_sub_f32_e32 v61, v8, v28
	v_add_f32_e32 v63, v7, v31
	v_mov_b32_e32 v4, v67
	v_mul_f32_e32 v65, 0xbf2c7751, v61
	v_fmac_f32_e32 v4, 0x3f6eb680, v63
	v_add_f32_e32 v60, v9, v29
	v_mov_b32_e32 v6, v65
	v_sub_f32_e32 v58, v10, v24
	v_add_f32_e32 v4, v5, v4
	v_fmac_f32_e32 v6, 0x3f3d2fb0, v60
	v_mul_f32_e32 v62, 0xbf65296c, v58
	v_add_f32_e32 v4, v4, v6
	v_add_f32_e32 v57, v11, v25
	v_mov_b32_e32 v6, v62
	v_sub_f32_e32 v55, v12, v32
	v_fmac_f32_e32 v6, 0x3ee437d1, v57
	v_mul_f32_e32 v59, 0xbf7ee86f, v55
	v_add_f32_e32 v4, v6, v4
	v_add_f32_e32 v54, v13, v33
	v_mov_b32_e32 v6, v59
	v_sub_f32_e32 v30, v14, v26
	;; [unrolled: 6-line block ×4, first 2 shown]
	v_fmac_f32_e32 v6, 0xbf1a4643, v24
	v_mul_f32_e32 v22, 0xbf06c442, v12
	v_lshl_add_u32 v66, v0, 2, 0
	v_add_f32_e32 v4, v4, v6
	v_add_f32_e32 v8, v19, v23
	v_mov_b32_e32 v6, v22
	v_add_u32_e32 v16, 0x400, v66
	v_add_u32_e32 v10, 0x600, v66
	;; [unrolled: 1-line block ×3, first 2 shown]
	v_fmac_f32_e32 v6, 0xbf59a7d5, v8
	s_waitcnt lgkmcnt(0)
	; wave barrier
	s_waitcnt lgkmcnt(0)
	ds_read2_b32 v[50:51], v66 offset1:51
	ds_read2_b32 v[44:45], v16 offset0:152 offset1:203
	ds_read2_b32 v[52:53], v66 offset0:102 offset1:153
	;; [unrolled: 1-line block ×7, first 2 shown]
	v_add_f32_e32 v34, v6, v4
	v_sub_f32_e32 v6, v20, v36
	v_mul_f32_e32 v14, 0xbe3c28d5, v6
	v_add_f32_e32 v4, v21, v37
	v_mov_b32_e32 v20, v14
	v_fmac_f32_e32 v20, 0xbf7ba420, v4
	v_add_f32_e32 v70, v34, v20
	s_waitcnt lgkmcnt(0)
	; wave barrier
	s_waitcnt lgkmcnt(0)
	s_and_saveexec_b64 s[2:3], s[0:1]
	s_cbranch_execz .LBB0_15
; %bb.14:
	v_add_f32_e32 v7, v5, v7
	v_add_f32_e32 v7, v7, v9
	;; [unrolled: 1-line block ×14, first 2 shown]
	v_mul_f32_e32 v20, 0x3f6eb680, v63
	v_add_f32_e32 v7, v29, v7
	v_mul_f32_e32 v11, 0xbf2c7751, v64
	s_mov_b32 s4, 0x3f3d2fb0
	v_mul_f32_e32 v15, 0xbf65296c, v64
	s_mov_b32 s1, 0x3ee437d1
	;; [unrolled: 2-line block ×7, first 2 shown]
	v_mul_f32_e32 v34, 0x3f3d2fb0, v60
	v_add_f32_e32 v7, v31, v7
	v_sub_f32_e32 v9, v20, v67
	v_fma_f32 v13, v63, s4, -v11
	v_fmac_f32_e32 v11, 0x3f3d2fb0, v63
	v_fma_f32 v17, v63, s1, -v15
	v_fmac_f32_e32 v15, 0x3ee437d1, v63
	;; [unrolled: 2-line block ×7, first 2 shown]
	v_add_f32_e32 v9, v5, v9
	v_add_f32_e32 v13, v5, v13
	;; [unrolled: 1-line block ×15, first 2 shown]
	v_sub_f32_e32 v33, v34, v65
	v_add_f32_e32 v9, v9, v33
	v_mul_f32_e32 v33, 0xbf7ee86f, v61
	v_fma_f32 v34, v60, s0, -v33
	v_fmac_f32_e32 v33, 0x3dbcf732, v60
	v_add_f32_e32 v11, v11, v33
	v_mul_f32_e32 v33, 0xbf4c4adb, v61
	v_add_f32_e32 v13, v13, v34
	v_fma_f32 v34, v60, s6, -v33
	v_fmac_f32_e32 v33, 0xbf1a4643, v60
	v_add_f32_e32 v15, v15, v33
	v_mul_f32_e32 v33, 0xbe3c28d5, v61
	v_add_f32_e32 v17, v17, v34
	;; [unrolled: 5-line block ×5, first 2 shown]
	v_fma_f32 v34, v60, s1, -v33
	v_fmac_f32_e32 v33, 0x3ee437d1, v60
	v_add_f32_e32 v29, v29, v33
	v_mul_f32_e32 v33, 0x3eb8f4ab, v61
	s_mov_b32 s11, 0x3f6eb680
	v_mul_f32_e32 v36, 0x3ee437d1, v57
	v_add_f32_e32 v31, v31, v34
	v_fma_f32 v34, v60, s11, -v33
	v_fmac_f32_e32 v33, 0x3f6eb680, v60
	v_add_f32_e32 v5, v5, v33
	v_sub_f32_e32 v33, v36, v62
	v_add_f32_e32 v9, v33, v9
	v_mul_f32_e32 v33, 0xbf4c4adb, v58
	v_add_f32_e32 v34, v35, v34
	v_fma_f32 v35, v57, s6, -v33
	v_fmac_f32_e32 v33, 0xbf1a4643, v57
	v_add_f32_e32 v11, v33, v11
	v_mul_f32_e32 v33, 0x3e3c28d5, v58
	v_add_f32_e32 v13, v35, v13
	v_fma_f32 v35, v57, s10, -v33
	v_fmac_f32_e32 v33, 0xbf7ba420, v57
	;; [unrolled: 5-line block ×6, first 2 shown]
	v_add_f32_e32 v29, v33, v29
	v_mul_f32_e32 v33, 0xbf06c442, v58
	v_mul_f32_e32 v68, 0x3dbcf732, v54
	v_add_f32_e32 v31, v35, v31
	v_fma_f32 v35, v57, s7, -v33
	v_fmac_f32_e32 v33, 0xbf59a7d5, v57
	v_add_f32_e32 v5, v33, v5
	v_sub_f32_e32 v33, v68, v59
	v_add_f32_e32 v9, v9, v33
	v_mul_f32_e32 v33, 0xbe3c28d5, v55
	v_add_f32_e32 v34, v35, v34
	v_fma_f32 v35, v54, s10, -v33
	v_fmac_f32_e32 v33, 0xbf7ba420, v54
	v_add_f32_e32 v11, v11, v33
	v_mul_f32_e32 v33, 0x3f763a35, v55
	v_add_f32_e32 v13, v13, v35
	v_fma_f32 v35, v54, s5, -v33
	v_fmac_f32_e32 v33, 0xbe8c1d8e, v54
	v_add_f32_e32 v15, v15, v33
	v_mul_f32_e32 v33, 0x3eb8f4ab, v55
	v_add_f32_e32 v17, v17, v35
	v_fma_f32 v35, v54, s11, -v33
	v_fmac_f32_e32 v33, 0x3f6eb680, v54
	v_add_f32_e32 v19, v19, v33
	v_mul_f32_e32 v33, 0xbf65296c, v55
	v_add_f32_e32 v20, v20, v35
	v_fma_f32 v35, v54, s1, -v33
	v_fmac_f32_e32 v33, 0x3ee437d1, v54
	v_add_f32_e32 v21, v21, v33
	v_mul_f32_e32 v33, 0xbf06c442, v55
	v_add_f32_e32 v23, v23, v35
	v_fma_f32 v35, v54, s7, -v33
	v_fmac_f32_e32 v33, 0xbf59a7d5, v54
	v_add_f32_e32 v25, v25, v33
	v_mul_f32_e32 v33, 0x3f4c4adb, v55
	v_add_f32_e32 v27, v27, v35
	v_fma_f32 v35, v54, s6, -v33
	v_fmac_f32_e32 v33, 0xbf1a4643, v54
	v_add_f32_e32 v29, v29, v33
	v_mul_f32_e32 v33, 0x3f2c7751, v55
	v_mul_f32_e32 v69, 0xbe8c1d8e, v28
	v_add_f32_e32 v31, v31, v35
	v_fma_f32 v35, v54, s4, -v33
	v_fmac_f32_e32 v33, 0x3f3d2fb0, v54
	v_add_f32_e32 v5, v5, v33
	v_sub_f32_e32 v33, v69, v56
	v_add_f32_e32 v9, v33, v9
	v_mul_f32_e32 v33, 0x3f06c442, v30
	v_add_f32_e32 v34, v34, v35
	v_fma_f32 v35, v28, s7, -v33
	v_fmac_f32_e32 v33, 0xbf59a7d5, v28
	v_add_f32_e32 v11, v33, v11
	v_mul_f32_e32 v33, 0x3f2c7751, v30
	v_add_f32_e32 v13, v35, v13
	v_fma_f32 v35, v28, s4, -v33
	v_fmac_f32_e32 v33, 0x3f3d2fb0, v28
	;; [unrolled: 5-line block ×5, first 2 shown]
	v_add_f32_e32 v25, v33, v25
	v_mul_f32_e32 v33, 0xbeb8f4ab, v30
	v_mul_f32_e32 v71, 0xbf1a4643, v24
	v_add_f32_e32 v27, v35, v27
	v_fma_f32 v35, v28, s11, -v33
	v_fmac_f32_e32 v33, 0x3f6eb680, v28
	v_mul_f32_e32 v30, 0xbf4c4adb, v30
	v_add_f32_e32 v29, v33, v29
	v_fma_f32 v33, v28, s6, -v30
	v_fmac_f32_e32 v30, 0xbf1a4643, v28
	v_sub_f32_e32 v28, v71, v32
	v_add_f32_e32 v9, v9, v28
	v_mul_f32_e32 v28, 0x3f763a35, v26
	v_add_f32_e32 v5, v30, v5
	v_fma_f32 v30, v24, s5, -v28
	v_fmac_f32_e32 v28, 0xbe8c1d8e, v24
	v_add_f32_e32 v11, v11, v28
	v_mul_f32_e32 v28, 0xbeb8f4ab, v26
	v_add_f32_e32 v13, v13, v30
	v_fma_f32 v30, v24, s11, -v28
	v_fmac_f32_e32 v28, 0x3f6eb680, v24
	;; [unrolled: 5-line block ×4, first 2 shown]
	v_add_f32_e32 v21, v21, v28
	v_mul_f32_e32 v28, 0xbf2c7751, v26
	v_mul_f32_e32 v72, 0xbf59a7d5, v8
	v_add_f32_e32 v23, v23, v30
	v_fma_f32 v30, v24, s4, -v28
	v_fmac_f32_e32 v28, 0x3f3d2fb0, v24
	v_add_f32_e32 v25, v25, v28
	v_mul_f32_e32 v28, 0xbe3c28d5, v26
	v_sub_f32_e32 v22, v72, v22
	v_add_f32_e32 v27, v27, v30
	v_fma_f32 v30, v24, s10, -v28
	v_fmac_f32_e32 v28, 0xbf7ba420, v24
	v_mul_f32_e32 v26, 0x3f65296c, v26
	v_add_f32_e32 v9, v22, v9
	v_mul_f32_e32 v22, 0x3f65296c, v12
	v_add_f32_e32 v28, v29, v28
	v_fma_f32 v29, v24, s1, -v26
	v_fmac_f32_e32 v26, 0x3ee437d1, v24
	v_fma_f32 v24, v8, s1, -v22
	v_fmac_f32_e32 v22, 0x3ee437d1, v8
	v_add_f32_e32 v11, v22, v11
	v_mul_f32_e32 v22, 0xbf7ee86f, v12
	v_add_f32_e32 v13, v24, v13
	v_fma_f32 v24, v8, s0, -v22
	v_fmac_f32_e32 v22, 0x3dbcf732, v8
	v_add_f32_e32 v15, v22, v15
	v_mul_f32_e32 v22, 0x3f4c4adb, v12
	v_add_f32_e32 v17, v24, v17
	;; [unrolled: 5-line block ×4, first 2 shown]
	v_fma_f32 v24, v8, s10, -v22
	v_fmac_f32_e32 v22, 0xbf7ba420, v8
	v_mul_f32_e32 v73, 0xbf7ba420, v4
	v_add_f32_e32 v22, v22, v25
	v_mul_f32_e32 v25, 0x3f2c7751, v12
	v_mul_f32_e32 v12, 0xbf763a35, v12
	v_add_f32_e32 v5, v5, v26
	v_add_f32_e32 v24, v24, v27
	v_fma_f32 v26, v8, s4, -v25
	v_fmac_f32_e32 v25, 0x3f3d2fb0, v8
	v_fma_f32 v27, v8, s5, -v12
	v_fmac_f32_e32 v12, 0xbe8c1d8e, v8
	v_sub_f32_e32 v8, v73, v14
	v_add_f32_e32 v8, v9, v8
	v_mul_f32_e32 v9, 0x3eb8f4ab, v6
	v_add_f32_e32 v5, v12, v5
	v_fma_f32 v12, v4, s11, -v9
	v_fmac_f32_e32 v9, 0x3f6eb680, v4
	v_add_f32_e32 v9, v11, v9
	v_mul_f32_e32 v11, 0xbf06c442, v6
	v_add_f32_e32 v12, v13, v12
	v_fma_f32 v13, v4, s7, -v11
	v_fmac_f32_e32 v11, 0xbf59a7d5, v4
	v_mul_f32_e32 v14, 0x3f2c7751, v6
	v_add_f32_e32 v13, v17, v13
	v_add_f32_e32 v11, v15, v11
	v_fma_f32 v15, v4, s4, -v14
	v_fmac_f32_e32 v14, 0x3f3d2fb0, v4
	v_mul_f32_e32 v17, 0xbf4c4adb, v6
	v_add_f32_e32 v15, v20, v15
	;; [unrolled: 5-line block ×3, first 2 shown]
	v_fma_f32 v21, v4, s1, -v20
	v_fmac_f32_e32 v20, 0x3ee437d1, v4
	v_add_f32_e32 v31, v35, v31
	v_add_f32_e32 v33, v33, v34
	;; [unrolled: 1-line block ×3, first 2 shown]
	v_mul_f32_e32 v22, 0xbf763a35, v6
	v_mul_f32_e32 v6, 0x3f7ee86f, v6
	v_add_f32_e32 v30, v31, v30
	v_add_f32_e32 v29, v33, v29
	;; [unrolled: 1-line block ×3, first 2 shown]
	v_fma_f32 v24, v4, s0, -v6
	v_fmac_f32_e32 v6, 0x3dbcf732, v4
	v_add_f32_e32 v26, v26, v30
	v_add_f32_e32 v25, v25, v28
	;; [unrolled: 1-line block ×4, first 2 shown]
	v_fma_f32 v23, v4, s5, -v22
	v_fmac_f32_e32 v22, 0xbe8c1d8e, v4
	v_add_f32_e32 v4, v5, v6
	v_lshl_add_u32 v5, v0, 6, v66
	v_add_f32_e32 v23, v26, v23
	v_add_f32_e32 v22, v25, v22
	;; [unrolled: 1-line block ×3, first 2 shown]
	ds_write2_b32 v5, v7, v8 offset1:1
	ds_write2_b32 v5, v12, v13 offset0:2 offset1:3
	ds_write2_b32 v5, v15, v19 offset0:4 offset1:5
	ds_write2_b32 v5, v21, v23 offset0:6 offset1:7
	ds_write2_b32 v5, v24, v4 offset0:8 offset1:9
	ds_write2_b32 v5, v22, v20 offset0:10 offset1:11
	ds_write2_b32 v5, v17, v14 offset0:12 offset1:13
	ds_write2_b32 v5, v11, v9 offset0:14 offset1:15
	ds_write_b32 v5, v70 offset:64
.LBB0_15:
	s_or_b64 exec, exec, s[2:3]
	s_movk_i32 s0, 0xf1
	v_mul_lo_u16_sdwa v4, v0, s0 dst_sel:DWORD dst_unused:UNUSED_PAD src0_sel:BYTE_0 src1_sel:DWORD
	v_lshrrev_b16_e32 v11, 12, v4
	v_mul_lo_u16_e32 v4, 17, v11
	v_add_u16_e32 v74, 51, v0
	v_sub_u16_e32 v12, v0, v4
	v_mul_lo_u16_sdwa v4, v74, s0 dst_sel:DWORD dst_unused:UNUSED_PAD src0_sel:BYTE_0 src1_sel:DWORD
	v_lshrrev_b16_e32 v15, 12, v4
	v_mul_lo_u16_e32 v4, 17, v15
	v_add_u16_e32 v73, 0x66, v0
	v_sub_u16_e32 v17, v74, v4
	;; [unrolled: 5-line block ×3, first 2 shown]
	v_mul_lo_u16_sdwa v4, v72, s0 dst_sel:DWORD dst_unused:UNUSED_PAD src0_sel:BYTE_0 src1_sel:DWORD
	v_lshrrev_b16_e32 v23, 12, v4
	v_mov_b32_e32 v13, 3
	v_mul_lo_u16_e32 v4, 17, v23
	v_add_u32_e32 v69, 0xcc, v0
	v_lshlrev_b32_sdwa v14, v13, v12 dst_sel:DWORD dst_unused:UNUSED_PAD src0_sel:DWORD src1_sel:BYTE_0
	v_sub_u16_e32 v75, v72, v4
	v_add_u32_e32 v68, 0xff, v0
	v_add_u32_e32 v71, 0x132, v0
	;; [unrolled: 1-line block ×3, first 2 shown]
	s_waitcnt lgkmcnt(0)
	; wave barrier
	s_waitcnt lgkmcnt(0)
	v_lshlrev_b32_sdwa v19, v13, v17 dst_sel:DWORD dst_unused:UNUSED_PAD src0_sel:DWORD src1_sel:BYTE_0
	v_lshlrev_b32_sdwa v22, v13, v21 dst_sel:DWORD dst_unused:UNUSED_PAD src0_sel:DWORD src1_sel:BYTE_0
	;; [unrolled: 1-line block ×3, first 2 shown]
	global_load_dwordx2 v[24:25], v14, s[8:9]
	global_load_dwordx2 v[8:9], v19, s[8:9]
	;; [unrolled: 1-line block ×4, first 2 shown]
	v_mul_lo_u16_sdwa v14, v69, s0 dst_sel:DWORD dst_unused:UNUSED_PAD src0_sel:BYTE_0 src1_sel:DWORD
	s_mov_b32 s0, 0xf0f1
	v_lshrrev_b16_e32 v14, 12, v14
	v_mul_u32_u24_sdwa v22, v68, s0 dst_sel:DWORD dst_unused:UNUSED_PAD src0_sel:WORD_0 src1_sel:DWORD
	v_mul_u32_u24_sdwa v27, v71, s0 dst_sel:DWORD dst_unused:UNUSED_PAD src0_sel:WORD_0 src1_sel:DWORD
	;; [unrolled: 1-line block ×3, first 2 shown]
	v_mul_lo_u16_e32 v19, 17, v14
	v_lshrrev_b32_e32 v22, 20, v22
	v_lshrrev_b32_e32 v77, 20, v27
	;; [unrolled: 1-line block ×3, first 2 shown]
	v_sub_u16_e32 v19, v69, v19
	v_mul_lo_u16_e32 v26, 17, v22
	v_mul_lo_u16_e32 v27, 17, v77
	;; [unrolled: 1-line block ×3, first 2 shown]
	v_lshlrev_b32_sdwa v13, v13, v19 dst_sel:DWORD dst_unused:UNUSED_PAD src0_sel:DWORD src1_sel:BYTE_0
	v_sub_u16_e32 v76, v68, v26
	v_sub_u16_e32 v78, v71, v27
	;; [unrolled: 1-line block ×3, first 2 shown]
	v_lshlrev_b32_e32 v26, 3, v76
	v_lshlrev_b32_e32 v27, 3, v78
	;; [unrolled: 1-line block ×3, first 2 shown]
	global_load_dwordx2 v[56:57], v13, s[8:9]
	global_load_dwordx2 v[54:55], v26, s[8:9]
	;; [unrolled: 1-line block ×4, first 2 shown]
	ds_read2_b32 v[36:37], v66 offset1:51
	ds_read2_b32 v[64:65], v16 offset0:152 offset1:203
	ds_read2_b32 v[30:31], v66 offset0:102 offset1:153
	;; [unrolled: 1-line block ×7, first 2 shown]
	v_mul_u32_u24_e32 v11, 0x88, v11
	s_waitcnt lgkmcnt(0)
	; wave barrier
	s_waitcnt lgkmcnt(0)
	v_cmp_gt_u32_e64 s[0:1], 17, v0
	s_waitcnt vmcnt(7)
	v_mul_f32_e32 v10, v64, v25
	v_fmac_f32_e32 v10, v44, v24
	s_waitcnt vmcnt(6)
	v_mul_f32_e32 v13, v65, v9
	v_sub_f32_e32 v10, v50, v10
	s_waitcnt vmcnt(5)
	v_mul_f32_e32 v81, v62, v7
	v_fmac_f32_e32 v13, v45, v8
	v_fma_f32 v50, v50, 2.0, -v10
	s_waitcnt vmcnt(4)
	v_mul_f32_e32 v82, v63, v5
	v_fmac_f32_e32 v81, v42, v6
	v_sub_f32_e32 v13, v51, v13
	v_fmac_f32_e32 v82, v43, v4
	v_sub_f32_e32 v81, v52, v81
	v_fma_f32 v51, v51, 2.0, -v13
	v_fma_f32 v52, v52, 2.0, -v81
	v_sub_f32_e32 v82, v53, v82
	v_fma_f32 v53, v53, 2.0, -v82
	s_waitcnt vmcnt(3)
	v_mul_f32_e32 v83, v60, v57
	s_waitcnt vmcnt(2)
	v_mul_f32_e32 v84, v61, v55
	;; [unrolled: 2-line block ×4, first 2 shown]
	v_fmac_f32_e32 v85, v38, v34
	v_fmac_f32_e32 v86, v39, v32
	v_sub_f32_e32 v85, v46, v85
	v_fmac_f32_e32 v84, v41, v54
	v_fma_f32 v88, v46, 2.0, -v85
	v_sub_f32_e32 v46, v47, v86
	v_mov_b32_e32 v86, 2
	v_sub_f32_e32 v84, v49, v84
	v_lshlrev_b32_sdwa v12, v86, v12 dst_sel:DWORD dst_unused:UNUSED_PAD src0_sel:DWORD src1_sel:BYTE_0
	v_fma_f32 v87, v49, 2.0, -v84
	v_add3_u32 v49, 0, v11, v12
	ds_write2_b32 v49, v50, v10 offset1:17
	v_mul_u32_u24_e32 v10, 0x88, v15
	v_lshlrev_b32_sdwa v11, v86, v17 dst_sel:DWORD dst_unused:UNUSED_PAD src0_sel:DWORD src1_sel:BYTE_0
	v_add3_u32 v50, 0, v10, v11
	v_mul_u32_u24_e32 v10, 0x88, v20
	v_lshlrev_b32_sdwa v11, v86, v21 dst_sel:DWORD dst_unused:UNUSED_PAD src0_sel:DWORD src1_sel:BYTE_0
	ds_write2_b32 v50, v51, v13 offset1:17
	v_add3_u32 v51, 0, v10, v11
	v_mul_u32_u24_e32 v10, 0x88, v23
	v_lshlrev_b32_sdwa v11, v86, v75 dst_sel:DWORD dst_unused:UNUSED_PAD src0_sel:DWORD src1_sel:BYTE_0
	ds_write2_b32 v51, v52, v81 offset1:17
	;; [unrolled: 4-line block ×3, first 2 shown]
	v_add3_u32 v53, 0, v10, v11
	v_mul_u32_u24_e32 v10, 0x88, v22
	v_lshlrev_b32_e32 v11, 2, v76
	v_fmac_f32_e32 v83, v40, v56
	v_add3_u32 v75, 0, v10, v11
	v_mul_u32_u24_e32 v10, 0x88, v77
	v_lshlrev_b32_e32 v11, 2, v78
	v_sub_f32_e32 v83, v48, v83
	v_add3_u32 v76, 0, v10, v11
	v_mul_u32_u24_e32 v10, 0x88, v79
	v_lshlrev_b32_e32 v11, 2, v80
	v_fma_f32 v48, v48, 2.0, -v83
	v_fma_f32 v47, v47, 2.0, -v46
	v_add3_u32 v77, 0, v10, v11
	v_add_u32_e32 v78, 0x200, v66
	ds_write2_b32 v53, v48, v83 offset1:17
	ds_write2_b32 v75, v87, v84 offset1:17
	;; [unrolled: 1-line block ×4, first 2 shown]
	s_waitcnt lgkmcnt(0)
	; wave barrier
	s_waitcnt lgkmcnt(0)
	ds_read2_b32 v[14:15], v66 offset1:51
	ds_read2_b32 v[10:11], v78 offset0:76 offset1:144
	ds_read2_b32 v[22:23], v18 offset0:32 offset1:83
	;; [unrolled: 1-line block ×6, first 2 shown]
	ds_read_b32 v48, v66 offset:2992
                                        ; implicit-def: $vgpr47
	s_and_saveexec_b64 s[2:3], s[0:1]
	s_cbranch_execz .LBB0_17
; %bb.16:
	ds_read_b32 v46, v66 offset:1020
	ds_read_b32 v1, v66 offset:2108
	;; [unrolled: 1-line block ×3, first 2 shown]
.LBB0_17:
	s_or_b64 exec, exec, s[2:3]
	v_mul_f32_e32 v25, v44, v25
	v_fma_f32 v24, v64, v24, -v25
	v_mul_f32_e32 v9, v45, v9
	v_mul_f32_e32 v7, v42, v7
	;; [unrolled: 1-line block ×4, first 2 shown]
	v_fma_f32 v8, v65, v8, -v9
	v_fma_f32 v6, v62, v6, -v7
	;; [unrolled: 1-line block ×3, first 2 shown]
	v_mul_f32_e32 v5, v40, v57
	v_mul_f32_e32 v7, v41, v55
	;; [unrolled: 1-line block ×3, first 2 shown]
	v_fma_f32 v25, v59, v32, -v25
	v_fma_f32 v5, v60, v56, -v5
	;; [unrolled: 1-line block ×4, first 2 shown]
	v_sub_f32_e32 v24, v36, v24
	v_sub_f32_e32 v32, v27, v25
	v_fma_f32 v33, v36, 2.0, -v24
	v_sub_f32_e32 v8, v37, v8
	v_sub_f32_e32 v6, v30, v6
	;; [unrolled: 1-line block ×6, first 2 shown]
	v_fma_f32 v25, v27, 2.0, -v32
	v_fma_f32 v34, v37, 2.0, -v8
	;; [unrolled: 1-line block ×7, first 2 shown]
	s_waitcnt lgkmcnt(0)
	; wave barrier
	s_waitcnt lgkmcnt(0)
	ds_write2_b32 v49, v33, v24 offset1:17
	ds_write2_b32 v50, v34, v8 offset1:17
	;; [unrolled: 1-line block ×8, first 2 shown]
	v_add_u32_e32 v24, 0x800, v66
	v_add_u32_e32 v25, 0x400, v66
	s_waitcnt lgkmcnt(0)
	; wave barrier
	s_waitcnt lgkmcnt(0)
	ds_read2_b32 v[6:7], v66 offset1:51
	ds_read2_b32 v[4:5], v78 offset0:76 offset1:144
	ds_read2_b32 v[30:31], v24 offset0:32 offset1:83
	;; [unrolled: 1-line block ×6, first 2 shown]
	ds_read_b32 v39, v66 offset:2992
                                        ; implicit-def: $vgpr37
	s_and_saveexec_b64 s[2:3], s[0:1]
	s_cbranch_execz .LBB0_19
; %bb.18:
	ds_read_b32 v32, v66 offset:1020
	ds_read_b32 v70, v66 offset:2108
	;; [unrolled: 1-line block ×3, first 2 shown]
.LBB0_19:
	s_or_b64 exec, exec, s[2:3]
	v_subrev_u32_e32 v33, 34, v0
	v_cmp_gt_u32_e64 s[2:3], 34, v0
	v_cndmask_b32_e64 v65, v33, v0, s[2:3]
	v_lshlrev_b32_e32 v33, 1, v65
	v_mov_b32_e32 v34, 0
	v_lshlrev_b64 v[33:34], 3, v[33:34]
	v_mov_b32_e32 v35, s9
	v_add_co_u32_e64 v33, s[2:3], s8, v33
	v_addc_co_u32_e64 v34, s[2:3], v35, v34, s[2:3]
	s_movk_i32 s2, 0xf1
	v_mul_lo_u16_sdwa v35, v74, s2 dst_sel:DWORD dst_unused:UNUSED_PAD src0_sel:BYTE_0 src1_sel:DWORD
	v_lshrrev_b16_e32 v80, 13, v35
	v_mul_lo_u16_e32 v35, 34, v80
	v_sub_u16_e32 v81, v74, v35
	v_mov_b32_e32 v35, 4
	v_lshlrev_b32_sdwa v36, v35, v81 dst_sel:DWORD dst_unused:UNUSED_PAD src0_sel:DWORD src1_sel:BYTE_0
	global_load_dwordx4 v[49:52], v[33:34], off offset:136
	global_load_dwordx4 v[53:56], v36, s[8:9] offset:136
	v_mul_lo_u16_sdwa v33, v73, s2 dst_sel:DWORD dst_unused:UNUSED_PAD src0_sel:BYTE_0 src1_sel:DWORD
	v_lshrrev_b16_e32 v82, 13, v33
	v_mul_lo_u16_sdwa v34, v72, s2 dst_sel:DWORD dst_unused:UNUSED_PAD src0_sel:BYTE_0 src1_sel:DWORD
	v_mul_lo_u16_e32 v33, 34, v82
	v_lshrrev_b16_e32 v84, 13, v34
	v_sub_u16_e32 v83, v73, v33
	v_mul_lo_u16_e32 v34, 34, v84
	v_lshlrev_b32_sdwa v33, v35, v83 dst_sel:DWORD dst_unused:UNUSED_PAD src0_sel:DWORD src1_sel:BYTE_0
	v_sub_u16_e32 v85, v72, v34
	v_lshlrev_b32_sdwa v34, v35, v85 dst_sel:DWORD dst_unused:UNUSED_PAD src0_sel:DWORD src1_sel:BYTE_0
	global_load_dwordx4 v[57:60], v33, s[8:9] offset:136
	global_load_dwordx4 v[61:64], v34, s[8:9] offset:136
	v_mul_lo_u16_sdwa v33, v69, s2 dst_sel:DWORD dst_unused:UNUSED_PAD src0_sel:BYTE_0 src1_sel:DWORD
	v_lshrrev_b16_e32 v86, 13, v33
	v_mul_lo_u16_e32 v33, 34, v86
	s_mov_b32 s2, 0xf0f1
	v_sub_u16_e32 v87, v69, v33
	v_mul_u32_u24_sdwa v34, v68, s2 dst_sel:DWORD dst_unused:UNUSED_PAD src0_sel:WORD_0 src1_sel:DWORD
	v_lshlrev_b32_sdwa v33, v35, v87 dst_sel:DWORD dst_unused:UNUSED_PAD src0_sel:DWORD src1_sel:BYTE_0
	v_lshrrev_b32_e32 v34, 21, v34
	global_load_dwordx4 v[72:75], v33, s[8:9] offset:136
	v_mul_lo_u16_e32 v33, 34, v34
	v_sub_u16_e32 v88, v68, v33
	v_lshlrev_b32_e32 v33, 4, v88
	global_load_dwordx4 v[76:79], v33, s[8:9] offset:136
	v_cmp_lt_u32_e64 s[2:3], 33, v0
	s_waitcnt lgkmcnt(0)
	; wave barrier
	s_waitcnt vmcnt(5) lgkmcnt(0)
	v_mul_f32_e32 v44, v5, v50
	v_mul_f32_e32 v45, v30, v52
	v_fmac_f32_e32 v44, v11, v49
	v_fmac_f32_e32 v45, v22, v51
	v_mul_f32_e32 v50, v11, v50
	v_mul_f32_e32 v52, v22, v52
	s_waitcnt vmcnt(4)
	v_mul_f32_e32 v42, v28, v54
	v_mul_f32_e32 v43, v31, v56
	;; [unrolled: 1-line block ×3, first 2 shown]
	v_fma_f32 v49, v5, v49, -v50
	v_fma_f32 v30, v30, v51, -v52
	s_waitcnt vmcnt(3)
	v_mul_f32_e32 v41, v26, v60
	s_waitcnt vmcnt(2)
	v_mul_f32_e32 v36, v24, v62
	v_mul_f32_e32 v62, v16, v62
	;; [unrolled: 1-line block ×5, first 2 shown]
	v_fmac_f32_e32 v41, v18, v59
	v_fma_f32 v18, v24, v61, -v62
	v_add_f32_e32 v24, v44, v45
	v_fmac_f32_e32 v42, v20, v53
	s_waitcnt vmcnt(1)
	v_mul_f32_e32 v34, v25, v73
	v_mul_f32_e32 v73, v17, v73
	v_fmac_f32_e32 v34, v17, v72
	v_fmac_f32_e32 v43, v23, v55
	s_waitcnt vmcnt(0)
	v_mul_f32_e32 v17, v47, v79
	v_fma_f32 v20, v29, v57, -v58
	v_fma_f32 v29, v37, v78, -v17
	v_add_f32_e32 v17, v14, v44
	v_fma_f32 v14, -0.5, v24, v14
	v_mul_f32_e32 v56, v23, v56
	v_fmac_f32_e32 v40, v21, v57
	v_fma_f32 v21, v26, v59, -v60
	v_fma_f32 v11, v25, v72, -v73
	v_sub_f32_e32 v24, v49, v30
	v_mov_b32_e32 v25, v14
	v_add_f32_e32 v26, v42, v43
	v_mul_f32_e32 v38, v27, v64
	v_mul_f32_e32 v64, v19, v64
	v_fma_f32 v22, v28, v53, -v54
	v_fma_f32 v23, v31, v55, -v56
	v_fmac_f32_e32 v25, 0xbf5db3d7, v24
	v_fmac_f32_e32 v14, 0x3f5db3d7, v24
	v_add_f32_e32 v24, v15, v42
	v_fmac_f32_e32 v15, -0.5, v26
	v_fmac_f32_e32 v38, v19, v63
	v_fma_f32 v19, v27, v63, -v64
	v_sub_f32_e32 v26, v22, v23
	v_mov_b32_e32 v27, v15
	v_add_f32_e32 v28, v40, v41
	v_mul_f32_e32 v33, v70, v77
	v_fmac_f32_e32 v36, v16, v61
	v_fmac_f32_e32 v27, 0xbf5db3d7, v26
	;; [unrolled: 1-line block ×3, first 2 shown]
	v_add_f32_e32 v26, v12, v40
	v_fma_f32 v12, -0.5, v28, v12
	v_mul_f32_e32 v77, v1, v77
	v_fmac_f32_e32 v33, v1, v76
	v_mul_f32_e32 v1, v37, v79
	v_sub_f32_e32 v28, v20, v21
	v_mov_b32_e32 v31, v12
	v_add_f32_e32 v37, v36, v38
	v_fmac_f32_e32 v31, 0xbf5db3d7, v28
	v_fmac_f32_e32 v12, 0x3f5db3d7, v28
	v_add_f32_e32 v28, v13, v36
	v_fmac_f32_e32 v13, -0.5, v37
	v_mul_f32_e32 v35, v39, v75
	v_sub_f32_e32 v37, v18, v19
	v_mov_b32_e32 v50, v13
	v_fmac_f32_e32 v35, v48, v74
	v_fmac_f32_e32 v50, 0xbf5db3d7, v37
	;; [unrolled: 1-line block ×3, first 2 shown]
	v_add_f32_e32 v37, v10, v34
	v_mul_f32_e32 v75, v48, v75
	v_add_f32_e32 v51, v37, v35
	v_add_f32_e32 v37, v34, v35
	v_fma_f32 v16, v39, v74, -v75
	v_fmac_f32_e32 v10, -0.5, v37
	v_sub_f32_e32 v37, v11, v16
	v_mov_b32_e32 v52, v10
	v_fmac_f32_e32 v52, 0xbf5db3d7, v37
	v_fmac_f32_e32 v10, 0x3f5db3d7, v37
	v_mov_b32_e32 v37, 0x198
	v_cndmask_b32_e64 v37, 0, v37, s[2:3]
	v_lshlrev_b32_e32 v39, 2, v65
	v_add_f32_e32 v17, v17, v45
	v_add3_u32 v37, 0, v37, v39
	ds_write2_b32 v37, v17, v25 offset1:34
	ds_write_b32 v37, v14 offset:272
	v_mov_b32_e32 v17, 2
	v_mul_u32_u24_e32 v14, 0x198, v80
	v_lshlrev_b32_sdwa v25, v17, v81 dst_sel:DWORD dst_unused:UNUSED_PAD src0_sel:DWORD src1_sel:BYTE_0
	v_add_f32_e32 v24, v24, v43
	v_add3_u32 v39, 0, v14, v25
	ds_write2_b32 v39, v24, v27 offset1:34
	ds_write_b32 v39, v15 offset:272
	v_mul_u32_u24_e32 v14, 0x198, v82
	v_lshlrev_b32_sdwa v15, v17, v83 dst_sel:DWORD dst_unused:UNUSED_PAD src0_sel:DWORD src1_sel:BYTE_0
	v_fmac_f32_e32 v1, v47, v78
	v_add_f32_e32 v26, v26, v41
	v_add3_u32 v47, 0, v14, v15
	ds_write2_b32 v47, v26, v31 offset1:34
	ds_write_b32 v47, v12 offset:272
	v_mul_u32_u24_e32 v12, 0x198, v84
	v_lshlrev_b32_sdwa v14, v17, v85 dst_sel:DWORD dst_unused:UNUSED_PAD src0_sel:DWORD src1_sel:BYTE_0
	v_add_f32_e32 v28, v28, v38
	v_add3_u32 v48, 0, v12, v14
	ds_write2_b32 v48, v28, v50 offset1:34
	ds_write_b32 v48, v13 offset:272
	v_mul_u32_u24_e32 v12, 0x198, v86
	v_lshlrev_b32_sdwa v13, v17, v87 dst_sel:DWORD dst_unused:UNUSED_PAD src0_sel:DWORD src1_sel:BYTE_0
	v_fma_f32 v5, v70, v76, -v77
	v_add3_u32 v50, 0, v12, v13
	v_lshl_add_u32 v31, v88, 2, 0
	ds_write2_b32 v50, v51, v52 offset1:34
	ds_write_b32 v50, v10 offset:272
	s_and_saveexec_b64 s[2:3], s[0:1]
	s_cbranch_execz .LBB0_21
; %bb.20:
	v_add_f32_e32 v10, v33, v1
	v_fma_f32 v10, -0.5, v10, v46
	v_sub_f32_e32 v12, v5, v29
	v_mov_b32_e32 v13, v10
	v_fmac_f32_e32 v13, 0x3f5db3d7, v12
	v_fmac_f32_e32 v10, 0xbf5db3d7, v12
	v_add_f32_e32 v12, v46, v33
	v_add_f32_e32 v12, v12, v1
	v_add_u32_e32 v14, 0x800, v31
	ds_write2_b32 v14, v12, v10 offset0:202 offset1:236
	ds_write_b32 v31, v13 offset:3128
.LBB0_21:
	s_or_b64 exec, exec, s[2:3]
	v_add_f32_e32 v10, v6, v49
	v_add_f32_e32 v46, v10, v30
	;; [unrolled: 1-line block ×3, first 2 shown]
	v_fma_f32 v6, -0.5, v10, v6
	v_sub_f32_e32 v10, v44, v45
	v_mov_b32_e32 v30, v6
	v_fmac_f32_e32 v30, 0x3f5db3d7, v10
	v_fmac_f32_e32 v6, 0xbf5db3d7, v10
	v_add_f32_e32 v10, v7, v22
	v_add_f32_e32 v44, v10, v23
	;; [unrolled: 1-line block ×3, first 2 shown]
	v_fmac_f32_e32 v7, -0.5, v10
	v_sub_f32_e32 v10, v42, v43
	v_mov_b32_e32 v42, v7
	v_fmac_f32_e32 v42, 0x3f5db3d7, v10
	v_fmac_f32_e32 v7, 0xbf5db3d7, v10
	v_add_f32_e32 v10, v8, v20
	v_add_f32_e32 v43, v10, v21
	;; [unrolled: 1-line block ×3, first 2 shown]
	v_fma_f32 v8, -0.5, v10, v8
	v_sub_f32_e32 v10, v40, v41
	v_mov_b32_e32 v40, v8
	v_fmac_f32_e32 v40, 0x3f5db3d7, v10
	v_fmac_f32_e32 v8, 0xbf5db3d7, v10
	v_add_f32_e32 v10, v9, v18
	v_add_f32_e32 v41, v10, v19
	;; [unrolled: 1-line block ×3, first 2 shown]
	v_fmac_f32_e32 v9, -0.5, v10
	v_sub_f32_e32 v10, v36, v38
	v_mov_b32_e32 v36, v9
	v_fmac_f32_e32 v36, 0x3f5db3d7, v10
	v_fmac_f32_e32 v9, 0xbf5db3d7, v10
	v_add_f32_e32 v10, v4, v11
	v_add_f32_e32 v38, v10, v16
	v_add_f32_e32 v10, v11, v16
	v_fmac_f32_e32 v4, -0.5, v10
	v_sub_f32_e32 v10, v34, v35
	v_mov_b32_e32 v34, v4
	v_add_u32_e32 v26, 0x400, v66
	v_add_u32_e32 v27, 0x600, v66
	;; [unrolled: 1-line block ×3, first 2 shown]
	v_fmac_f32_e32 v34, 0x3f5db3d7, v10
	v_fmac_f32_e32 v4, 0xbf5db3d7, v10
	s_waitcnt lgkmcnt(0)
	; wave barrier
	s_waitcnt lgkmcnt(0)
	ds_read2_b32 v[16:17], v66 offset1:51
	ds_read2_b32 v[24:25], v26 offset0:152 offset1:203
	ds_read2_b32 v[14:15], v66 offset0:102 offset1:153
	;; [unrolled: 1-line block ×7, first 2 shown]
	s_waitcnt lgkmcnt(0)
	; wave barrier
	s_waitcnt lgkmcnt(0)
	ds_write2_b32 v37, v46, v30 offset1:34
	ds_write_b32 v37, v6 offset:272
	ds_write2_b32 v39, v44, v42 offset1:34
	ds_write_b32 v39, v7 offset:272
	;; [unrolled: 2-line block ×5, first 2 shown]
	s_and_saveexec_b64 s[2:3], s[0:1]
	s_cbranch_execz .LBB0_23
; %bb.22:
	v_add_f32_e32 v4, v32, v5
	v_add_f32_e32 v5, v5, v29
	v_fmac_f32_e32 v32, -0.5, v5
	v_sub_f32_e32 v1, v33, v1
	v_mov_b32_e32 v5, v32
	v_add_f32_e32 v4, v4, v29
	v_fmac_f32_e32 v5, 0x3f5db3d7, v1
	v_fmac_f32_e32 v32, 0xbf5db3d7, v1
	v_add_u32_e32 v1, 0x800, v31
	ds_write2_b32 v1, v4, v5 offset0:202 offset1:236
	ds_write_b32 v31, v32 offset:3128
.LBB0_23:
	s_or_b64 exec, exec, s[2:3]
	v_mov_b32_e32 v1, 0
	v_lshlrev_b64 v[4:5], 3, v[0:1]
	v_mov_b32_e32 v0, s9
	v_add_co_u32_e64 v6, s[0:1], s8, v4
	v_addc_co_u32_e64 v7, s[0:1], v0, v5, s[0:1]
	s_movk_i32 s0, 0xa1
	v_mul_lo_u16_sdwa v0, v69, s0 dst_sel:DWORD dst_unused:UNUSED_PAD src0_sel:BYTE_0 src1_sel:DWORD
	s_mov_b32 s0, 0xa0a1
	v_lshrrev_b16_e32 v0, 14, v0
	v_mul_u32_u24_sdwa v31, v71, s0 dst_sel:DWORD dst_unused:UNUSED_PAD src0_sel:WORD_0 src1_sel:DWORD
	v_mul_u32_u24_sdwa v32, v67, s0 dst_sel:DWORD dst_unused:UNUSED_PAD src0_sel:WORD_0 src1_sel:DWORD
	v_mul_lo_u16_e32 v0, 0x66, v0
	v_lshrrev_b32_e32 v31, 22, v31
	v_lshrrev_b32_e32 v32, 22, v32
	v_mul_lo_u16_e32 v31, 0x66, v31
	v_mul_lo_u16_e32 v32, 0x66, v32
	v_sub_u16_e32 v0, v69, v0
	v_mul_u32_u24_sdwa v36, v68, s0 dst_sel:DWORD dst_unused:UNUSED_PAD src0_sel:WORD_0 src1_sel:DWORD
	v_sub_u16_e32 v55, v71, v31
	v_sub_u16_e32 v56, v67, v32
	v_and_b32_e32 v0, 0xff, v0
	v_lshrrev_b32_e32 v36, 22, v36
	s_waitcnt lgkmcnt(0)
	; wave barrier
	s_waitcnt lgkmcnt(0)
	global_load_dwordx2 v[8:9], v[6:7], off offset:680
	global_load_dwordx2 v[29:30], v[6:7], off offset:1088
	v_lshlrev_b32_e32 v31, 3, v55
	v_lshlrev_b32_e32 v33, 3, v56
	;; [unrolled: 1-line block ×3, first 2 shown]
	v_mul_lo_u16_e32 v36, 0x66, v36
	global_load_dwordx2 v[31:32], v31, s[8:9] offset:680
	v_sub_u16_e32 v57, v68, v36
	global_load_dwordx2 v[33:34], v33, s[8:9] offset:680
	v_lshlrev_b32_e32 v37, 3, v57
	global_load_dwordx2 v[35:36], v35, s[8:9] offset:680
	v_lshl_add_u32 v0, v0, 2, 0
	global_load_dwordx2 v[37:38], v37, s[8:9] offset:680
	ds_read2_b32 v[39:40], v66 offset1:51
	ds_read2_b32 v[41:42], v26 offset0:152 offset1:203
	ds_read2_b32 v[43:44], v66 offset0:102 offset1:153
	;; [unrolled: 1-line block ×7, first 2 shown]
	v_add_u32_e32 v0, 0x400, v0
	s_waitcnt lgkmcnt(0)
	; wave barrier
	s_waitcnt vmcnt(5) lgkmcnt(0)
	v_mul_f32_e32 v58, v41, v9
	v_mul_f32_e32 v59, v24, v9
	;; [unrolled: 1-line block ×4, first 2 shown]
	s_waitcnt vmcnt(4)
	v_mul_f32_e32 v60, v42, v30
	v_mul_f32_e32 v61, v25, v30
	v_fmac_f32_e32 v58, v24, v8
	v_fma_f32 v24, v41, v8, -v59
	v_fmac_f32_e32 v62, v22, v8
	v_fma_f32 v8, v45, v8, -v9
	;; [unrolled: 2-line block ×3, first 2 shown]
	v_sub_f32_e32 v42, v43, v8
	s_waitcnt vmcnt(1)
	v_mul_f32_e32 v8, v49, v36
	v_mul_f32_e32 v63, v46, v30
	;; [unrolled: 1-line block ×3, first 2 shown]
	v_fmac_f32_e32 v8, v18, v35
	v_fmac_f32_e32 v63, v23, v29
	v_fma_f32 v9, v46, v29, -v30
	v_mul_f32_e32 v22, v53, v32
	v_mul_f32_e32 v23, v20, v32
	;; [unrolled: 1-line block ×4, first 2 shown]
	v_sub_f32_e32 v32, v16, v58
	v_sub_f32_e32 v34, v17, v60
	;; [unrolled: 1-line block ×4, first 2 shown]
	v_mul_f32_e32 v36, v18, v36
	v_fmac_f32_e32 v22, v20, v31
	v_fma_f32 v20, v53, v31, -v23
	v_fma_f32 v16, v16, 2.0, -v32
	v_fma_f32 v17, v17, 2.0, -v34
	v_sub_f32_e32 v23, v15, v63
	v_fma_f32 v12, v12, 2.0, -v8
	s_waitcnt vmcnt(0)
	v_mul_f32_e32 v45, v50, v38
	v_mul_f32_e32 v38, v19, v38
	v_fma_f32 v14, v14, 2.0, -v41
	v_fma_f32 v18, v49, v35, -v36
	v_sub_f32_e32 v35, v44, v9
	v_fma_f32 v9, v15, 2.0, -v23
	ds_write2_b32 v66, v16, v17 offset1:51
	ds_write2_b32 v66, v32, v34 offset0:102 offset1:153
	ds_write2_b32 v66, v14, v9 offset0:204 offset1:255
	;; [unrolled: 1-line block ×4, first 2 shown]
	v_lshl_add_u32 v8, v57, 2, 0
	v_sub_f32_e32 v24, v39, v24
	v_fmac_f32_e32 v29, v21, v33
	v_fmac_f32_e32 v45, v19, v37
	v_fma_f32 v19, v50, v37, -v38
	v_add_u32_e32 v32, 0x400, v8
	v_lshl_add_u32 v8, v55, 2, 0
	v_sub_f32_e32 v25, v40, v25
	v_fma_f32 v21, v54, v33, -v30
	v_fma_f32 v30, v39, 2.0, -v24
	v_sub_f32_e32 v37, v47, v18
	v_sub_f32_e32 v15, v13, v45
	;; [unrolled: 1-line block ×5, first 2 shown]
	v_add_u32_e32 v34, 0x800, v8
	v_lshl_add_u32 v8, v56, 2, 0
	v_fma_f32 v31, v40, 2.0, -v25
	v_fma_f32 v33, v43, 2.0, -v42
	v_fma_f32 v13, v13, 2.0, -v15
	v_sub_f32_e32 v43, v51, v20
	v_fma_f32 v10, v10, 2.0, -v18
	v_sub_f32_e32 v29, v52, v21
	v_fma_f32 v11, v11, 2.0, -v19
	v_add_u32_e32 v41, 0x800, v8
	v_fma_f32 v36, v44, 2.0, -v35
	v_fma_f32 v38, v47, 2.0, -v37
	;; [unrolled: 1-line block ×5, first 2 shown]
	ds_write2_b32 v32, v13, v15 offset0:152 offset1:254
	ds_write2_b32 v34, v10, v18 offset0:100 offset1:202
	;; [unrolled: 1-line block ×3, first 2 shown]
	s_waitcnt lgkmcnt(0)
	; wave barrier
	s_waitcnt lgkmcnt(0)
	ds_read2_b32 v[8:9], v66 offset1:51
	ds_read2_b32 v[10:11], v26 offset0:152 offset1:203
	ds_read2_b32 v[12:13], v66 offset0:102 offset1:153
	;; [unrolled: 1-line block ×7, first 2 shown]
	s_waitcnt lgkmcnt(0)
	; wave barrier
	s_waitcnt lgkmcnt(0)
	ds_write2_b32 v66, v30, v31 offset1:51
	ds_write2_b32 v66, v24, v25 offset0:102 offset1:153
	ds_write2_b32 v66, v33, v36 offset0:204 offset1:255
	;; [unrolled: 1-line block ×7, first 2 shown]
	s_waitcnt lgkmcnt(0)
	; wave barrier
	s_waitcnt lgkmcnt(0)
	global_load_dwordx2 v[24:25], v[6:7], off offset:1496
	global_load_dwordx2 v[29:30], v[6:7], off offset:1904
	;; [unrolled: 1-line block ×4, first 2 shown]
	ds_read2_b32 v[35:36], v66 offset1:51
	ds_read2_b32 v[37:38], v26 offset0:152 offset1:203
	ds_read2_b32 v[39:40], v66 offset0:102 offset1:153
	;; [unrolled: 1-line block ×7, first 2 shown]
	s_waitcnt lgkmcnt(0)
	; wave barrier
	s_waitcnt vmcnt(3) lgkmcnt(0)
	v_mul_f32_e32 v0, v37, v25
	s_waitcnt vmcnt(2)
	v_mul_f32_e32 v52, v38, v30
	v_mul_f32_e32 v53, v11, v30
	v_fmac_f32_e32 v52, v11, v29
	v_fma_f32 v11, v38, v29, -v53
	v_mul_f32_e32 v38, v45, v25
	v_mul_f32_e32 v51, v10, v25
	v_fmac_f32_e32 v38, v18, v24
	v_mul_f32_e32 v18, v18, v25
	v_fmac_f32_e32 v0, v10, v24
	v_fma_f32 v10, v37, v24, -v51
	v_fma_f32 v18, v45, v24, -v18
	v_mul_f32_e32 v24, v46, v30
	s_waitcnt vmcnt(0)
	v_mul_f32_e32 v37, v42, v34
	v_fmac_f32_e32 v24, v19, v29
	v_mul_f32_e32 v19, v19, v30
	v_mul_f32_e32 v25, v49, v32
	;; [unrolled: 1-line block ×4, first 2 shown]
	v_fmac_f32_e32 v37, v15, v33
	v_mul_f32_e32 v15, v15, v34
	v_fma_f32 v19, v46, v29, -v19
	v_fmac_f32_e32 v25, v22, v31
	v_mul_f32_e32 v22, v22, v32
	v_mul_f32_e32 v29, v50, v34
	v_fmac_f32_e32 v54, v14, v31
	v_fma_f32 v14, v41, v31, -v55
	v_fma_f32 v15, v42, v33, -v15
	;; [unrolled: 1-line block ×3, first 2 shown]
	v_fmac_f32_e32 v29, v23, v33
	v_mul_f32_e32 v23, v23, v34
	v_sub_f32_e32 v32, v36, v11
	v_fma_f32 v23, v50, v33, -v23
	v_sub_f32_e32 v0, v8, v0
	v_sub_f32_e32 v30, v35, v10
	;; [unrolled: 1-line block ×3, first 2 shown]
	v_fma_f32 v33, v36, 2.0, -v32
	v_sub_f32_e32 v11, v12, v54
	v_sub_f32_e32 v34, v39, v14
	;; [unrolled: 1-line block ×11, first 2 shown]
	v_fma_f32 v8, v8, 2.0, -v0
	v_fma_f32 v9, v9, 2.0, -v10
	;; [unrolled: 1-line block ×8, first 2 shown]
	v_sub_f32_e32 v29, v48, v23
	ds_write2_b32 v66, v8, v9 offset1:51
	ds_write2_b32 v66, v0, v10 offset0:204 offset1:255
	ds_write2_b32 v66, v12, v13 offset0:102 offset1:153
	;; [unrolled: 1-line block ×7, first 2 shown]
	s_waitcnt lgkmcnt(0)
	; wave barrier
	s_waitcnt lgkmcnt(0)
	ds_read2_b32 v[8:9], v66 offset1:51
	ds_read2_b32 v[10:11], v26 offset0:152 offset1:203
	ds_read2_b32 v[16:17], v66 offset0:102 offset1:153
	;; [unrolled: 1-line block ×7, first 2 shown]
	v_fma_f32 v31, v35, 2.0, -v30
	v_fma_f32 v35, v39, 2.0, -v34
	;; [unrolled: 1-line block ×7, first 2 shown]
	s_waitcnt lgkmcnt(0)
	; wave barrier
	s_waitcnt lgkmcnt(0)
	ds_write2_b32 v66, v31, v33 offset1:51
	ds_write2_b32 v66, v30, v32 offset0:204 offset1:255
	ds_write2_b32 v66, v35, v37 offset0:102 offset1:153
	;; [unrolled: 1-line block ×7, first 2 shown]
	s_waitcnt lgkmcnt(0)
	; wave barrier
	s_waitcnt lgkmcnt(0)
	s_and_saveexec_b64 s[0:1], vcc
	s_cbranch_execz .LBB0_25
; %bb.24:
	v_add_co_u32_e32 v24, vcc, 0x4c8, v6
	v_addc_co_u32_e32 v25, vcc, 0, v7, vcc
	v_add_co_u32_e32 v26, vcc, 0x1000, v6
	global_load_dwordx2 v[28:29], v[24:25], off offset:3128
	global_load_dwordx2 v[30:31], v[6:7], off offset:3944
	;; [unrolled: 1-line block ×3, first 2 shown]
	v_addc_co_u32_e32 v27, vcc, 0, v7, vcc
	global_load_dwordx2 v[24:25], v[6:7], off offset:3128
	global_load_dwordx2 v[34:35], v[26:27], off offset:1888
	;; [unrolled: 1-line block ×5, first 2 shown]
	v_add_u32_e32 v50, 0x800, v66
	v_add_u32_e32 v46, 0x600, v66
	;; [unrolled: 1-line block ×3, first 2 shown]
	ds_read2_b32 v[6:7], v66 offset0:204 offset1:255
	ds_read2_b32 v[26:27], v66 offset0:102 offset1:153
	ds_read2_b32 v[42:43], v66 offset1:51
	ds_read2_b32 v[44:45], v0 offset0:50 offset1:101
	ds_read2_b32 v[46:47], v46 offset0:126 offset1:177
	;; [unrolled: 1-line block ×5, first 2 shown]
	v_add_co_u32_e32 v2, vcc, s12, v2
	s_mov_b32 s1, 0xa0a0a0a1
	s_movk_i32 s0, 0x1000
	s_waitcnt vmcnt(7)
	v_mul_f32_e32 v0, v23, v29
	s_waitcnt lgkmcnt(3)
	v_mul_f32_e32 v29, v47, v29
	s_waitcnt vmcnt(5)
	v_mul_f32_e32 v55, v11, v33
	s_waitcnt lgkmcnt(0)
	v_mul_f32_e32 v33, v53, v33
	s_waitcnt vmcnt(4)
	v_mul_f32_e32 v56, v10, v25
	s_waitcnt vmcnt(3)
	;; [unrolled: 2-line block ×3, first 2 shown]
	v_mul_f32_e32 v59, v19, v39
	v_mul_f32_e32 v39, v51, v39
	v_fma_f32 v0, v28, v47, -v0
	s_waitcnt vmcnt(0)
	v_mul_f32_e32 v60, v18, v41
	v_mul_f32_e32 v41, v50, v41
	v_fmac_f32_e32 v29, v23, v28
	v_fmac_f32_e32 v33, v11, v32
	v_fma_f32 v11, v34, v49, -v57
	v_fmac_f32_e32 v39, v19, v38
	v_sub_f32_e32 v19, v27, v0
	v_fma_f32 v0, v24, v52, -v56
	v_fmac_f32_e32 v41, v18, v40
	v_sub_f32_e32 v18, v17, v29
	v_sub_f32_e32 v29, v45, v11
	;; [unrolled: 1-line block ×3, first 2 shown]
	v_mul_f32_e32 v0, v52, v25
	v_fmac_f32_e32 v0, v10, v24
	v_sub_f32_e32 v10, v8, v0
	v_mov_b32_e32 v0, s13
	v_addc_co_u32_e32 v0, vcc, v0, v3, vcc
	v_add_co_u32_e32 v2, vcc, v2, v4
	v_addc_co_u32_e32 v3, vcc, v0, v5, vcc
	v_mul_hi_u32 v0, v69, s1
	v_mul_f32_e32 v54, v22, v31
	v_mul_f32_e32 v31, v46, v31
	;; [unrolled: 1-line block ×3, first 2 shown]
	v_fma_f32 v23, v30, v46, -v54
	v_fmac_f32_e32 v31, v22, v30
	v_fma_f32 v22, v32, v53, -v55
	v_mul_f32_e32 v58, v20, v37
	v_mul_f32_e32 v37, v48, v37
	v_fmac_f32_e32 v35, v21, v34
	v_sub_f32_e32 v21, v26, v23
	v_sub_f32_e32 v23, v43, v22
	;; [unrolled: 1-line block ×3, first 2 shown]
	v_lshrrev_b32_e32 v0, 8, v0
	v_fma_f32 v30, v36, v48, -v58
	v_fmac_f32_e32 v37, v20, v36
	v_sub_f32_e32 v20, v16, v31
	v_fma_f32 v36, v17, 2.0, -v18
	v_fma_f32 v17, v26, 2.0, -v21
	v_fma_f32 v26, v9, 2.0, -v22
	v_fma_f32 v9, v42, 2.0, -v11
	v_fma_f32 v8, v8, 2.0, -v10
	v_mul_u32_u24_e32 v0, 0x198, v0
	v_sub_f32_e32 v31, v44, v30
	v_sub_f32_e32 v30, v14, v37
	v_fma_f32 v37, v27, 2.0, -v19
	v_fma_f32 v16, v16, 2.0, -v20
	;; [unrolled: 1-line block ×3, first 2 shown]
	global_store_dwordx2 v[2:3], v[8:9], off
	global_store_dwordx2 v[2:3], v[10:11], off offset:3264
	global_store_dwordx2 v[2:3], v[26:27], off offset:408
	;; [unrolled: 1-line block ×6, first 2 shown]
	v_lshlrev_b64 v[8:9], 3, v[0:1]
	v_mul_hi_u32 v0, v68, s1
	v_add_co_u32_e32 v4, vcc, s0, v2
	v_addc_co_u32_e32 v5, vcc, 0, v3, vcc
	v_fma_f32 v32, v38, v51, -v59
	v_fma_f32 v34, v40, v50, -v60
	v_add_co_u32_e32 v8, vcc, v2, v8
	v_sub_f32_e32 v28, v15, v35
	v_sub_f32_e32 v33, v7, v32
	;; [unrolled: 1-line block ×4, first 2 shown]
	v_addc_co_u32_e32 v9, vcc, v3, v9, vcc
	s_movk_i32 s0, 0x660
	v_lshrrev_b32_e32 v0, 8, v0
	v_fma_f32 v41, v7, 2.0, -v33
	v_fma_f32 v7, v6, 2.0, -v35
	;; [unrolled: 1-line block ×3, first 2 shown]
	v_add_co_u32_e32 v10, vcc, s0, v8
	v_mul_u32_u24_e32 v0, 0x198, v0
	global_store_dwordx2 v[4:5], v[18:19], off offset:392
	v_addc_co_u32_e32 v11, vcc, 0, v9, vcc
	global_store_dwordx2 v[8:9], v[6:7], off offset:1632
	global_store_dwordx2 v[10:11], v[34:35], off offset:3264
	v_lshlrev_b64 v[6:7], 3, v[0:1]
	v_mul_hi_u32 v0, v67, s1
	v_add_co_u32_e32 v6, vcc, v2, v6
	v_addc_co_u32_e32 v7, vcc, v3, v7, vcc
	v_lshrrev_b32_e32 v0, 8, v0
	s_movk_i32 s0, 0x7f8
	v_mul_u32_u24_e32 v0, 0x198, v0
	v_add_co_u32_e32 v8, vcc, s0, v6
	v_lshlrev_b64 v[0:1], 3, v[0:1]
	v_addc_co_u32_e32 v9, vcc, 0, v7, vcc
	v_sub_f32_e32 v32, v13, v39
	v_add_co_u32_e32 v0, vcc, v2, v0
	v_fma_f32 v40, v13, 2.0, -v32
	v_addc_co_u32_e32 v1, vcc, v3, v1, vcc
	v_fma_f32 v39, v45, 2.0, -v29
	v_fma_f32 v38, v15, 2.0, -v28
	;; [unrolled: 1-line block ×4, first 2 shown]
	global_store_dwordx2 v[6:7], v[40:41], off offset:2040
	global_store_dwordx2 v[8:9], v[32:33], off offset:3264
	;; [unrolled: 1-line block ×4, first 2 shown]
	v_add_co_u32_e32 v2, vcc, 0xb28, v0
	v_addc_co_u32_e32 v3, vcc, 0, v1, vcc
	global_store_dwordx2 v[0:1], v[38:39], off offset:2856
	global_store_dwordx2 v[2:3], v[28:29], off offset:3264
.LBB0_25:
	s_endpgm
	.section	.rodata,"a",@progbits
	.p2align	6, 0x0
	.amdhsa_kernel fft_rtc_back_len816_factors_17_2_3_2_2_2_wgs_51_tpt_51_halfLds_sp_ip_CI_unitstride_sbrr_dirReg
		.amdhsa_group_segment_fixed_size 0
		.amdhsa_private_segment_fixed_size 0
		.amdhsa_kernarg_size 88
		.amdhsa_user_sgpr_count 6
		.amdhsa_user_sgpr_private_segment_buffer 1
		.amdhsa_user_sgpr_dispatch_ptr 0
		.amdhsa_user_sgpr_queue_ptr 0
		.amdhsa_user_sgpr_kernarg_segment_ptr 1
		.amdhsa_user_sgpr_dispatch_id 0
		.amdhsa_user_sgpr_flat_scratch_init 0
		.amdhsa_user_sgpr_private_segment_size 0
		.amdhsa_uses_dynamic_stack 0
		.amdhsa_system_sgpr_private_segment_wavefront_offset 0
		.amdhsa_system_sgpr_workgroup_id_x 1
		.amdhsa_system_sgpr_workgroup_id_y 0
		.amdhsa_system_sgpr_workgroup_id_z 0
		.amdhsa_system_sgpr_workgroup_info 0
		.amdhsa_system_vgpr_workitem_id 0
		.amdhsa_next_free_vgpr 89
		.amdhsa_next_free_sgpr 22
		.amdhsa_reserve_vcc 1
		.amdhsa_reserve_flat_scratch 0
		.amdhsa_float_round_mode_32 0
		.amdhsa_float_round_mode_16_64 0
		.amdhsa_float_denorm_mode_32 3
		.amdhsa_float_denorm_mode_16_64 3
		.amdhsa_dx10_clamp 1
		.amdhsa_ieee_mode 1
		.amdhsa_fp16_overflow 0
		.amdhsa_exception_fp_ieee_invalid_op 0
		.amdhsa_exception_fp_denorm_src 0
		.amdhsa_exception_fp_ieee_div_zero 0
		.amdhsa_exception_fp_ieee_overflow 0
		.amdhsa_exception_fp_ieee_underflow 0
		.amdhsa_exception_fp_ieee_inexact 0
		.amdhsa_exception_int_div_zero 0
	.end_amdhsa_kernel
	.text
.Lfunc_end0:
	.size	fft_rtc_back_len816_factors_17_2_3_2_2_2_wgs_51_tpt_51_halfLds_sp_ip_CI_unitstride_sbrr_dirReg, .Lfunc_end0-fft_rtc_back_len816_factors_17_2_3_2_2_2_wgs_51_tpt_51_halfLds_sp_ip_CI_unitstride_sbrr_dirReg
                                        ; -- End function
	.section	.AMDGPU.csdata,"",@progbits
; Kernel info:
; codeLenInByte = 11904
; NumSgprs: 26
; NumVgprs: 89
; ScratchSize: 0
; MemoryBound: 0
; FloatMode: 240
; IeeeMode: 1
; LDSByteSize: 0 bytes/workgroup (compile time only)
; SGPRBlocks: 3
; VGPRBlocks: 22
; NumSGPRsForWavesPerEU: 26
; NumVGPRsForWavesPerEU: 89
; Occupancy: 2
; WaveLimiterHint : 1
; COMPUTE_PGM_RSRC2:SCRATCH_EN: 0
; COMPUTE_PGM_RSRC2:USER_SGPR: 6
; COMPUTE_PGM_RSRC2:TRAP_HANDLER: 0
; COMPUTE_PGM_RSRC2:TGID_X_EN: 1
; COMPUTE_PGM_RSRC2:TGID_Y_EN: 0
; COMPUTE_PGM_RSRC2:TGID_Z_EN: 0
; COMPUTE_PGM_RSRC2:TIDIG_COMP_CNT: 0
	.type	__hip_cuid_f4d2897e4e045459,@object ; @__hip_cuid_f4d2897e4e045459
	.section	.bss,"aw",@nobits
	.globl	__hip_cuid_f4d2897e4e045459
__hip_cuid_f4d2897e4e045459:
	.byte	0                               ; 0x0
	.size	__hip_cuid_f4d2897e4e045459, 1

	.ident	"AMD clang version 19.0.0git (https://github.com/RadeonOpenCompute/llvm-project roc-6.4.0 25133 c7fe45cf4b819c5991fe208aaa96edf142730f1d)"
	.section	".note.GNU-stack","",@progbits
	.addrsig
	.addrsig_sym __hip_cuid_f4d2897e4e045459
	.amdgpu_metadata
---
amdhsa.kernels:
  - .args:
      - .actual_access:  read_only
        .address_space:  global
        .offset:         0
        .size:           8
        .value_kind:     global_buffer
      - .offset:         8
        .size:           8
        .value_kind:     by_value
      - .actual_access:  read_only
        .address_space:  global
        .offset:         16
        .size:           8
        .value_kind:     global_buffer
      - .actual_access:  read_only
        .address_space:  global
        .offset:         24
        .size:           8
        .value_kind:     global_buffer
      - .offset:         32
        .size:           8
        .value_kind:     by_value
      - .actual_access:  read_only
        .address_space:  global
        .offset:         40
        .size:           8
        .value_kind:     global_buffer
      - .actual_access:  read_only
        .address_space:  global
        .offset:         48
        .size:           8
        .value_kind:     global_buffer
      - .offset:         56
        .size:           4
        .value_kind:     by_value
      - .actual_access:  read_only
        .address_space:  global
        .offset:         64
        .size:           8
        .value_kind:     global_buffer
      - .actual_access:  read_only
        .address_space:  global
        .offset:         72
        .size:           8
        .value_kind:     global_buffer
      - .address_space:  global
        .offset:         80
        .size:           8
        .value_kind:     global_buffer
    .group_segment_fixed_size: 0
    .kernarg_segment_align: 8
    .kernarg_segment_size: 88
    .language:       OpenCL C
    .language_version:
      - 2
      - 0
    .max_flat_workgroup_size: 51
    .name:           fft_rtc_back_len816_factors_17_2_3_2_2_2_wgs_51_tpt_51_halfLds_sp_ip_CI_unitstride_sbrr_dirReg
    .private_segment_fixed_size: 0
    .sgpr_count:     26
    .sgpr_spill_count: 0
    .symbol:         fft_rtc_back_len816_factors_17_2_3_2_2_2_wgs_51_tpt_51_halfLds_sp_ip_CI_unitstride_sbrr_dirReg.kd
    .uniform_work_group_size: 1
    .uses_dynamic_stack: false
    .vgpr_count:     89
    .vgpr_spill_count: 0
    .wavefront_size: 64
amdhsa.target:   amdgcn-amd-amdhsa--gfx906
amdhsa.version:
  - 1
  - 2
...

	.end_amdgpu_metadata
